;; amdgpu-corpus repo=ROCm/rocFFT kind=compiled arch=gfx906 opt=O3
	.text
	.amdgcn_target "amdgcn-amd-amdhsa--gfx906"
	.amdhsa_code_object_version 6
	.protected	bluestein_single_back_len442_dim1_dp_op_CI_CI ; -- Begin function bluestein_single_back_len442_dim1_dp_op_CI_CI
	.globl	bluestein_single_back_len442_dim1_dp_op_CI_CI
	.p2align	8
	.type	bluestein_single_back_len442_dim1_dp_op_CI_CI,@function
bluestein_single_back_len442_dim1_dp_op_CI_CI: ; @bluestein_single_back_len442_dim1_dp_op_CI_CI
; %bb.0:
	s_mov_b64 s[62:63], s[2:3]
	v_mul_u32_u24_e32 v1, 0x788, v0
	s_mov_b64 s[60:61], s[0:1]
	s_load_dwordx4 s[0:3], s[4:5], 0x28
	v_lshrrev_b32_e32 v1, 16, v1
	s_add_u32 s60, s60, s7
	v_mad_u64_u32 v[4:5], s[6:7], s6, 7, v[1:2]
	v_mov_b32_e32 v5, 0
	s_addc_u32 s61, s61, 0
	s_waitcnt lgkmcnt(0)
	v_cmp_gt_u64_e32 vcc, s[0:1], v[4:5]
	s_and_saveexec_b64 s[0:1], vcc
	s_cbranch_execz .LBB0_23
; %bb.1:
	s_mov_b32 s0, 0x24924925
	v_mul_hi_u32 v2, v4, s0
	v_mul_lo_u16_e32 v1, 34, v1
	s_load_dwordx2 s[12:13], s[4:5], 0x0
	s_load_dwordx2 s[14:15], s[4:5], 0x38
	v_sub_u16_e32 v184, v0, v1
	v_sub_u32_e32 v3, v4, v2
	v_lshrrev_b32_e32 v3, 1, v3
	v_add_u32_e32 v2, v3, v2
	v_lshrrev_b32_e32 v2, 2, v2
	v_mul_lo_u32 v2, v2, 7
	v_mov_b32_e32 v0, v4
	buffer_store_dword v0, off, s[60:63], 0 ; 4-byte Folded Spill
	s_nop 0
	buffer_store_dword v1, off, s[60:63], 0 offset:4 ; 4-byte Folded Spill
	v_cmp_gt_u16_e32 vcc, 26, v184
	v_sub_u32_e32 v0, v4, v2
	v_mul_u32_u24_e32 v182, 0x1ba, v0
	v_lshlrev_b32_e32 v213, 4, v184
	v_lshlrev_b32_e32 v214, 4, v182
	s_and_saveexec_b64 s[6:7], vcc
	s_cbranch_execz .LBB0_3
; %bb.2:
	s_load_dwordx2 s[0:1], s[4:5], 0x18
	s_waitcnt lgkmcnt(0)
	v_mov_b32_e32 v48, s13
	v_or_b32_e32 v127, 0x1a0, v184
	s_load_dwordx4 s[8:11], s[0:1], 0x0
	buffer_load_dword v0, off, s[60:63], 0  ; 4-byte Folded Reload
	buffer_load_dword v1, off, s[60:63], 0 offset:4 ; 4-byte Folded Reload
	s_waitcnt lgkmcnt(0)
	v_mad_u64_u32 v[2:3], s[0:1], s8, v184, 0
	s_waitcnt vmcnt(1)
	v_mov_b32_e32 v4, v0
	s_waitcnt vmcnt(0)
	v_mad_u64_u32 v[0:1], s[0:1], s10, v4, 0
	v_mad_u64_u32 v[4:5], s[0:1], s11, v4, v[1:2]
	;; [unrolled: 1-line block ×3, first 2 shown]
	v_mov_b32_e32 v1, v4
	v_lshlrev_b64 v[0:1], 4, v[0:1]
	v_mov_b32_e32 v3, v5
	v_mov_b32_e32 v6, s3
	v_lshlrev_b64 v[2:3], 4, v[2:3]
	v_add_co_u32_e64 v18, s[0:1], s2, v0
	v_addc_co_u32_e64 v19, s[0:1], v6, v1, s[0:1]
	v_add_co_u32_e64 v16, s[0:1], v18, v2
	v_addc_co_u32_e64 v17, s[0:1], v19, v3, s[0:1]
	;; [unrolled: 2-line block ×3, first 2 shown]
	s_mul_i32 s0, s9, 0x1a0
	s_mul_hi_u32 s1, s8, 0x1a0
	s_mul_i32 s2, s8, 0x1a0
	s_add_i32 s3, s1, s0
	global_load_dwordx4 v[0:3], v213, s[12:13]
	global_load_dwordx4 v[4:7], v[16:17], off
	v_mov_b32_e32 v52, s3
	v_add_co_u32_e64 v16, s[0:1], s2, v16
	v_addc_co_u32_e64 v17, s[0:1], v17, v52, s[0:1]
	v_mov_b32_e32 v57, s3
	v_add_co_u32_e64 v56, s[0:1], s2, v16
	v_addc_co_u32_e64 v57, s[0:1], v17, v57, s[0:1]
	global_load_dwordx4 v[8:11], v213, s[12:13] offset:416
	global_load_dwordx4 v[12:15], v213, s[12:13] offset:832
	;; [unrolled: 1-line block ×9, first 2 shown]
	v_mov_b32_e32 v58, s3
	global_load_dwordx4 v[52:55], v[16:17], off
	v_add_co_u32_e64 v16, s[0:1], s2, v56
	v_addc_co_u32_e64 v17, s[0:1], v57, v58, s[0:1]
	v_mov_b32_e32 v64, s3
	v_add_co_u32_e64 v67, s[0:1], s2, v16
	v_addc_co_u32_e64 v68, s[0:1], v17, v64, s[0:1]
	v_mov_b32_e32 v69, s3
	global_load_dwordx4 v[56:59], v[56:57], off
	v_mov_b32_e32 v72, s3
	global_load_dwordx4 v[60:63], v[16:17], off
	v_add_co_u32_e64 v16, s[0:1], s2, v67
	v_addc_co_u32_e64 v17, s[0:1], v68, v69, s[0:1]
	v_add_co_u32_e64 v75, s[0:1], s2, v16
	v_addc_co_u32_e64 v76, s[0:1], v17, v72, s[0:1]
	v_mov_b32_e32 v77, s3
	global_load_dwordx4 v[64:67], v[67:68], off
	v_mov_b32_e32 v80, s3
	global_load_dwordx4 v[68:71], v[16:17], off
	v_add_co_u32_e64 v16, s[0:1], s2, v75
	v_addc_co_u32_e64 v17, s[0:1], v76, v77, s[0:1]
	;; [unrolled: 8-line block ×3, first 2 shown]
	v_add_co_u32_e64 v92, s[0:1], s2, v16
	v_addc_co_u32_e64 v93, s[0:1], v17, v88, s[0:1]
	s_movk_i32 s0, 0x1000
	global_load_dwordx4 v[80:83], v[83:84], off
	v_mov_b32_e32 v106, s3
	global_load_dwordx4 v[84:87], v[16:17], off
	v_add_co_u32_e64 v16, s[0:1], s0, v94
	v_addc_co_u32_e64 v17, s[0:1], 0, v95, s[0:1]
	v_mov_b32_e32 v94, s3
	v_add_co_u32_e64 v104, s[0:1], s2, v92
	v_addc_co_u32_e64 v105, s[0:1], v93, v94, s[0:1]
	v_add_co_u32_e64 v108, s[0:1], s2, v104
	v_addc_co_u32_e64 v109, s[0:1], v105, v106, s[0:1]
	v_mov_b32_e32 v110, s3
	v_add_co_u32_e64 v120, s[0:1], s2, v108
	v_addc_co_u32_e64 v121, s[0:1], v109, v110, s[0:1]
	v_mov_b32_e32 v122, s3
	v_add_co_u32_e64 v124, s[0:1], s2, v120
	v_addc_co_u32_e64 v125, s[0:1], v121, v122, s[0:1]
	v_mad_u64_u32 v[138:139], s[0:1], s8, v127, 0
	v_lshlrev_b32_e32 v48, 4, v127
	global_load_dwordx4 v[48:51], v48, s[12:13]
	v_mov_b32_e32 v126, s3
	global_load_dwordx4 v[88:91], v[92:93], off
	s_nop 0
	global_load_dwordx4 v[92:95], v[104:105], off
	global_load_dwordx4 v[96:99], v[16:17], off offset:64
	global_load_dwordx4 v[100:103], v[16:17], off offset:480
	s_waitcnt vmcnt(23)
	v_mul_f64 v[136:137], v[6:7], v[2:3]
	global_load_dwordx4 v[104:107], v[108:109], off
	s_nop 0
	global_load_dwordx4 v[108:111], v[120:121], off
	global_load_dwordx4 v[112:115], v[16:17], off offset:896
	global_load_dwordx4 v[116:119], v[16:17], off offset:1312
	s_nop 0
	global_load_dwordx4 v[120:123], v[124:125], off
	v_add_co_u32_e64 v124, s[0:1], s2, v124
	v_addc_co_u32_e64 v125, s[0:1], v125, v126, s[0:1]
	v_mov_b32_e32 v126, v139
	v_mad_u64_u32 v[139:140], s[0:1], s9, v127, v[126:127]
	global_load_dwordx4 v[124:127], v[124:125], off
	s_nop 0
	global_load_dwordx4 v[128:131], v[16:17], off offset:1728
	global_load_dwordx4 v[132:135], v[16:17], off offset:2144
	v_lshlrev_b64 v[16:17], 4, v[138:139]
	v_mul_f64 v[138:139], v[4:5], v[2:3]
	v_add_co_u32_e64 v16, s[0:1], v18, v16
	v_addc_co_u32_e64 v17, s[0:1], v19, v17, s[0:1]
	global_load_dwordx4 v[16:19], v[16:17], off
	v_fma_f64 v[2:3], v[4:5], v[0:1], v[136:137]
	v_fma_f64 v[4:5], v[6:7], v[0:1], -v[138:139]
	v_lshl_add_u32 v6, v184, 4, v214
	s_waitcnt vmcnt(22)
	v_mul_f64 v[0:1], v[54:55], v[10:11]
	ds_write_b128 v6, v[2:5]
	v_mul_f64 v[2:3], v[52:53], v[10:11]
	s_waitcnt vmcnt(21)
	v_mul_f64 v[4:5], v[58:59], v[14:15]
	v_mul_f64 v[6:7], v[56:57], v[14:15]
	s_waitcnt vmcnt(20)
	v_mul_f64 v[10:11], v[62:63], v[22:23]
	;; [unrolled: 3-line block ×3, first 2 shown]
	v_mul_f64 v[26:27], v[64:65], v[26:27]
	v_fma_f64 v[0:1], v[52:53], v[8:9], v[0:1]
	v_fma_f64 v[2:3], v[54:55], v[8:9], -v[2:3]
	v_fma_f64 v[4:5], v[56:57], v[12:13], v[4:5]
	v_fma_f64 v[6:7], v[58:59], v[12:13], -v[6:7]
	;; [unrolled: 2-line block ×3, first 2 shown]
	v_fma_f64 v[12:13], v[64:65], v[24:25], v[22:23]
	s_waitcnt vmcnt(18)
	v_mul_f64 v[20:21], v[70:71], v[30:31]
	v_mul_f64 v[22:23], v[68:69], v[30:31]
	v_fma_f64 v[14:15], v[66:67], v[24:25], -v[26:27]
	s_waitcnt vmcnt(17)
	v_mul_f64 v[24:25], v[74:75], v[34:35]
	v_mul_f64 v[26:27], v[72:73], v[34:35]
	s_waitcnt vmcnt(16)
	v_mul_f64 v[30:31], v[78:79], v[38:39]
	v_mul_f64 v[34:35], v[76:77], v[38:39]
	;; [unrolled: 3-line block ×3, first 2 shown]
	v_fma_f64 v[20:21], v[68:69], v[28:29], v[20:21]
	v_fma_f64 v[22:23], v[70:71], v[28:29], -v[22:23]
	v_fma_f64 v[24:25], v[72:73], v[32:33], v[24:25]
	v_fma_f64 v[26:27], v[74:75], v[32:33], -v[26:27]
	;; [unrolled: 2-line block ×3, first 2 shown]
	v_add_u32_e32 v52, v214, v213
	v_fma_f64 v[32:33], v[80:81], v[40:41], v[38:39]
	v_fma_f64 v[34:35], v[82:83], v[40:41], -v[42:43]
	ds_write_b128 v52, v[0:3] offset:416
	ds_write_b128 v52, v[4:7] offset:832
	;; [unrolled: 1-line block ×8, first 2 shown]
	s_waitcnt vmcnt(14)
	v_mul_f64 v[0:1], v[86:87], v[46:47]
	v_mul_f64 v[2:3], v[84:85], v[46:47]
	v_fma_f64 v[0:1], v[84:85], v[44:45], v[0:1]
	v_fma_f64 v[2:3], v[86:87], v[44:45], -v[2:3]
	s_waitcnt vmcnt(10)
	v_mul_f64 v[4:5], v[90:91], v[98:99]
	v_mul_f64 v[6:7], v[88:89], v[98:99]
	s_waitcnt vmcnt(9)
	v_mul_f64 v[8:9], v[94:95], v[102:103]
	v_mul_f64 v[10:11], v[92:93], v[102:103]
	;; [unrolled: 3-line block ×4, first 2 shown]
	v_fma_f64 v[4:5], v[88:89], v[96:97], v[4:5]
	v_fma_f64 v[6:7], v[90:91], v[96:97], -v[6:7]
	v_fma_f64 v[8:9], v[92:93], v[100:101], v[8:9]
	v_fma_f64 v[10:11], v[94:95], v[100:101], -v[10:11]
	v_fma_f64 v[12:13], v[104:105], v[112:113], v[12:13]
	s_waitcnt vmcnt(2)
	v_mul_f64 v[24:25], v[122:123], v[130:131]
	v_mul_f64 v[26:27], v[120:121], v[130:131]
	s_waitcnt vmcnt(1)
	v_mul_f64 v[28:29], v[126:127], v[134:135]
	v_mul_f64 v[30:31], v[124:125], v[134:135]
	v_fma_f64 v[14:15], v[106:107], v[112:113], -v[14:15]
	v_fma_f64 v[20:21], v[108:109], v[116:117], v[20:21]
	v_fma_f64 v[22:23], v[110:111], v[116:117], -v[22:23]
	v_fma_f64 v[24:25], v[120:121], v[128:129], v[24:25]
	s_waitcnt vmcnt(0)
	v_mul_f64 v[32:33], v[18:19], v[50:51]
	v_mul_f64 v[34:35], v[16:17], v[50:51]
	v_fma_f64 v[26:27], v[122:123], v[128:129], -v[26:27]
	v_fma_f64 v[28:29], v[124:125], v[132:133], v[28:29]
	v_fma_f64 v[30:31], v[126:127], v[132:133], -v[30:31]
	v_fma_f64 v[16:17], v[16:17], v[48:49], v[32:33]
	v_fma_f64 v[18:19], v[18:19], v[48:49], -v[34:35]
	ds_write_b128 v52, v[0:3] offset:3744
	ds_write_b128 v52, v[4:7] offset:4160
	;; [unrolled: 1-line block ×8, first 2 shown]
.LBB0_3:
	s_or_b64 exec, exec, s[6:7]
	s_waitcnt vmcnt(0) lgkmcnt(0)
	s_barrier
	s_waitcnt lgkmcnt(0)
                                        ; implicit-def: $vgpr12_vgpr13
                                        ; implicit-def: $vgpr80_vgpr81
                                        ; implicit-def: $vgpr84_vgpr85
                                        ; implicit-def: $vgpr76_vgpr77
                                        ; implicit-def: $vgpr72_vgpr73
                                        ; implicit-def: $vgpr68_vgpr69
                                        ; implicit-def: $vgpr60_vgpr61
                                        ; implicit-def: $vgpr16_vgpr17
                                        ; implicit-def: $vgpr20_vgpr21
                                        ; implicit-def: $vgpr24_vgpr25
                                        ; implicit-def: $vgpr28_vgpr29
                                        ; implicit-def: $vgpr32_vgpr33
                                        ; implicit-def: $vgpr36_vgpr37
                                        ; implicit-def: $vgpr40_vgpr41
                                        ; implicit-def: $vgpr44_vgpr45
                                        ; implicit-def: $vgpr48_vgpr49
                                        ; implicit-def: $vgpr52_vgpr53
	s_and_saveexec_b64 s[0:1], vcc
	s_cbranch_execz .LBB0_5
; %bb.4:
	v_lshl_add_u32 v0, v182, 4, v213
	ds_read_b128 v[12:15], v0
	ds_read_b128 v[80:83], v0 offset:416
	ds_read_b128 v[84:87], v0 offset:832
	;; [unrolled: 1-line block ×16, first 2 shown]
.LBB0_5:
	s_or_b64 exec, exec, s[0:1]
	s_waitcnt lgkmcnt(1)
	v_add_f64 v[233:234], v[86:87], -v[50:51]
	s_mov_b32 s34, 0x6c9a05f6
	s_mov_b32 s35, 0xbfe9895b
	s_waitcnt lgkmcnt(0)
	v_add_f64 v[215:216], v[82:83], -v[54:55]
	v_add_f64 v[197:198], v[80:81], -v[52:53]
	;; [unrolled: 1-line block ×3, first 2 shown]
	s_mov_b32 s26, 0x5d8e7cdc
	s_mov_b32 s28, 0x2a9d6da3
	v_mul_f64 v[88:89], v[233:234], s[34:35]
	s_mov_b32 s30, 0x7c9e640b
	s_mov_b32 s27, 0xbfd71e95
	;; [unrolled: 1-line block ×4, first 2 shown]
	v_add_f64 v[102:103], v[80:81], v[52:53]
	v_add_f64 v[104:105], v[82:83], v[54:55]
	v_mul_f64 v[94:95], v[197:198], s[26:27]
	buffer_store_dword v88, off, s[60:63], 0 offset:40 ; 4-byte Folded Spill
	s_nop 0
	buffer_store_dword v89, off, s[60:63], 0 offset:44 ; 4-byte Folded Spill
	v_mul_f64 v[187:188], v[197:198], s[28:29]
	v_mul_f64 v[201:202], v[215:216], s[30:31]
	;; [unrolled: 1-line block ×3, first 2 shown]
	s_mov_b32 s0, 0x370991
	s_mov_b32 s10, 0x75d4884
	;; [unrolled: 1-line block ×8, first 2 shown]
	v_fma_f64 v[2:3], v[104:105], s[0:1], -v[94:95]
	v_fma_f64 v[6:7], v[104:105], s[10:11], -v[187:188]
	v_fma_f64 v[8:9], v[102:103], s[2:3], v[201:202]
	v_add_f64 v[122:123], v[84:85], v[48:49]
	v_add_f64 v[126:127], v[86:87], v[50:51]
	v_mul_f64 v[191:192], v[225:226], s[28:29]
	v_mul_f64 v[205:206], v[225:226], s[36:37]
	buffer_store_dword v90, off, s[60:63], 0 offset:72 ; 4-byte Folded Spill
	s_nop 0
	buffer_store_dword v91, off, s[60:63], 0 offset:76 ; 4-byte Folded Spill
	v_add_f64 v[235:236], v[76:77], -v[44:45]
	s_mov_b32 s6, 0x3259b75e
	s_mov_b32 s20, 0x6ed5f1bb
	;; [unrolled: 1-line block ×4, first 2 shown]
	v_add_f64 v[2:3], v[14:15], v[2:3]
	v_add_f64 v[6:7], v[14:15], v[6:7]
	;; [unrolled: 1-line block ×3, first 2 shown]
	v_fma_f64 v[58:59], v[126:127], s[10:11], -v[191:192]
	v_fma_f64 v[66:67], v[126:127], s[6:7], -v[205:206]
	v_add_f64 v[237:238], v[78:79], -v[46:47]
	v_add_f64 v[144:145], v[78:79], v[46:47]
	v_mul_f64 v[209:210], v[235:236], s[30:31]
	s_mov_b32 s38, 0xacd6c6b4
	s_mov_b32 s39, 0xbfc7851a
	;; [unrolled: 1-line block ×4, first 2 shown]
	v_add_f64 v[2:3], v[58:59], v[2:3]
	v_add_f64 v[6:7], v[66:67], v[6:7]
	v_mul_f64 v[66:67], v[235:236], s[34:35]
	v_fma_f64 v[58:59], v[144:145], s[2:3], -v[209:210]
	v_mul_f64 v[98:99], v[235:236], s[44:45]
	v_add_f64 v[106:107], v[74:75], -v[42:43]
	buffer_store_dword v66, off, s[60:63], 0 offset:104 ; 4-byte Folded Spill
	s_nop 0
	buffer_store_dword v67, off, s[60:63], 0 offset:108 ; 4-byte Folded Spill
	v_add_f64 v[2:3], v[58:59], v[2:3]
	v_mul_f64 v[203:204], v[197:198], s[30:31]
	v_mul_f64 v[58:59], v[106:107], s[36:37]
	;; [unrolled: 1-line block ×6, first 2 shown]
	v_add_f64 v[142:143], v[76:77], v[44:45]
	v_mul_f64 v[231:232], v[237:238], s[34:35]
	v_fma_f64 v[10:11], v[104:105], s[2:3], -v[203:204]
	s_mov_b32 s24, 0x7faef3
	v_fma_f64 v[0:1], v[102:103], s[0:1], v[92:93]
	v_fma_f64 v[4:5], v[102:103], s[10:11], v[185:186]
	v_fma_f64 v[56:57], v[122:123], s[10:11], v[189:190]
	v_fma_f64 v[64:65], v[122:123], s[6:7], v[199:200]
	s_mov_b32 s25, 0xbfef7484
	v_add_f64 v[156:157], v[72:73], v[40:41]
	v_add_f64 v[10:11], v[14:15], v[10:11]
	v_add_f64 v[239:240], v[72:73], -v[40:41]
	v_add_f64 v[0:1], v[12:13], v[0:1]
	v_add_f64 v[4:5], v[12:13], v[4:5]
	s_mov_b32 s40, 0x923c349f
	s_mov_b32 s41, 0xbfeec746
	;; [unrolled: 1-line block ×4, first 2 shown]
	v_add_f64 v[160:161], v[74:75], v[42:43]
	v_add_f64 v[124:125], v[70:71], -v[38:39]
	v_add_f64 v[0:1], v[56:57], v[0:1]
	v_add_f64 v[4:5], v[64:65], v[4:5]
	v_fma_f64 v[64:65], v[142:143], s[20:21], v[231:232]
	s_mov_b32 s16, 0xc61f0d01
	v_fma_f64 v[88:89], v[122:123], s[20:21], v[88:89]
	s_mov_b32 s17, 0xbfd183b1
	v_add_f64 v[100:101], v[68:69], -v[36:37]
	s_mov_b32 s46, 0x4363dd80
	s_mov_b32 s47, 0x3fe0d888
	v_add_f64 v[172:173], v[68:69], v[36:37]
	v_add_f64 v[4:5], v[64:65], v[4:5]
	v_mul_f64 v[64:65], v[106:107], s[38:39]
	v_add_f64 v[8:9], v[88:89], v[8:9]
	v_mul_f64 v[88:89], v[237:238], s[44:45]
	v_mul_f64 v[108:109], v[100:101], s[40:41]
	;; [unrolled: 1-line block ×3, first 2 shown]
	s_mov_b32 s49, 0x3fe58eea
	s_mov_b32 s48, s28
	v_add_f64 v[174:175], v[70:71], v[38:39]
	s_mov_b32 s22, 0x910ea3b9
	buffer_store_dword v88, off, s[60:63], 0 offset:112 ; 4-byte Folded Spill
	s_nop 0
	buffer_store_dword v89, off, s[60:63], 0 offset:116 ; 4-byte Folded Spill
	buffer_store_dword v98, off, s[60:63], 0 offset:176 ; 4-byte Folded Spill
	s_nop 0
	buffer_store_dword v99, off, s[60:63], 0 offset:180 ; 4-byte Folded Spill
	;; [unrolled: 3-line block ×3, first 2 shown]
	v_fma_f64 v[90:91], v[126:127], s[20:21], -v[90:91]
	s_mov_b32 s23, 0xbfeb34fa
	v_add_f64 v[158:159], v[62:63], -v[34:35]
	v_add_f64 v[120:121], v[60:61], -v[32:33]
	v_add_f64 v[193:194], v[60:61], v[32:33]
	v_add_f64 v[176:177], v[18:19], -v[30:31]
	s_mov_b32 s53, 0xbfe0d888
	s_mov_b32 s52, s46
	v_add_f64 v[10:11], v[90:91], v[10:11]
	v_mul_f64 v[90:91], v[237:238], s[30:31]
	v_add_f64 v[195:196], v[62:63], v[34:35]
	v_mul_f64 v[112:113], v[120:121], s[26:27]
	v_add_f64 v[152:153], v[16:17], -v[28:29]
	v_add_f64 v[207:208], v[16:17], v[28:29]
	s_mov_b32 s55, 0x3feca52d
	s_mov_b32 s54, s30
	v_add_f64 v[211:212], v[18:19], v[30:31]
	v_fma_f64 v[56:57], v[142:143], s[2:3], v[90:91]
	v_add_f64 v[180:181], v[22:23], -v[26:27]
	v_add_f64 v[178:179], v[20:21], -v[24:25]
	s_mov_b32 s51, 0x3fd71e95
	s_mov_b32 s50, s26
	v_add_f64 v[221:222], v[20:21], v[24:25]
	v_add_f64 v[223:224], v[22:23], v[26:27]
	v_mul_f64 v[96:97], v[215:216], s[36:37]
	v_add_f64 v[0:1], v[56:57], v[0:1]
	v_mul_f64 v[245:246], v[197:198], s[36:37]
	v_fma_f64 v[56:57], v[144:145], s[20:21], -v[66:67]
	v_mul_f64 v[249:250], v[237:238], s[42:43]
	v_mul_f64 v[253:254], v[124:125], s[30:31]
	;; [unrolled: 1-line block ×3, first 2 shown]
	s_mov_b32 s59, 0x3fe9895b
	s_mov_b32 s58, s34
	v_mul_f64 v[251:252], v[176:177], s[58:59]
	v_mul_f64 v[116:117], v[152:153], s[58:59]
	v_add_f64 v[6:7], v[56:57], v[6:7]
	v_mul_f64 v[247:248], v[180:181], s[48:49]
	v_mul_f64 v[118:119], v[178:179], s[48:49]
	;; [unrolled: 1-line block ×12, first 2 shown]
	s_mov_b32 s57, 0x3fefdd0d
	s_mov_b32 s56, s36
	v_mul_f64 v[138:139], v[158:159], s[56:57]
	v_mul_f64 v[166:167], v[120:121], s[56:57]
	;; [unrolled: 1-line block ×6, first 2 shown]
	v_fma_f64 v[66:67], v[142:143], s[24:25], v[88:89]
	v_fma_f64 v[88:89], v[144:145], s[24:25], -v[98:99]
	v_fma_f64 v[56:57], v[156:157], s[6:7], v[58:59]
	v_mul_f64 v[58:59], v[239:240], s[36:37]
	v_mul_f64 v[98:99], v[239:240], s[42:43]
	buffer_store_dword v58, off, s[60:63], 0 offset:88 ; 4-byte Folded Spill
	s_nop 0
	buffer_store_dword v59, off, s[60:63], 0 offset:92 ; 4-byte Folded Spill
	v_add_f64 v[8:9], v[66:67], v[8:9]
	v_add_f64 v[10:11], v[88:89], v[10:11]
	v_mul_f64 v[66:67], v[239:240], s[38:39]
	v_mul_f64 v[88:89], v[106:107], s[42:43]
	buffer_store_dword v64, off, s[60:63], 0 offset:96 ; 4-byte Folded Spill
	s_nop 0
	buffer_store_dword v65, off, s[60:63], 0 offset:100 ; 4-byte Folded Spill
	buffer_store_dword v66, off, s[60:63], 0 offset:168 ; 4-byte Folded Spill
	s_nop 0
	buffer_store_dword v67, off, s[60:63], 0 offset:172 ; 4-byte Folded Spill
	;; [unrolled: 3-line block ×4, first 2 shown]
	v_add_f64 v[0:1], v[56:57], v[0:1]
	v_fma_f64 v[56:57], v[160:161], s[6:7], -v[58:59]
	v_fma_f64 v[58:59], v[156:157], s[24:25], v[64:65]
	v_add_f64 v[2:3], v[56:57], v[2:3]
	v_fma_f64 v[64:65], v[160:161], s[24:25], -v[66:67]
	v_fma_f64 v[66:67], v[156:157], s[16:17], v[88:89]
	v_fma_f64 v[88:89], v[160:161], s[16:17], -v[98:99]
	v_mul_f64 v[98:99], v[124:125], s[40:41]
	buffer_store_dword v98, off, s[60:63], 0 offset:120 ; 4-byte Folded Spill
	s_nop 0
	buffer_store_dword v99, off, s[60:63], 0 offset:124 ; 4-byte Folded Spill
	v_add_f64 v[8:9], v[66:67], v[8:9]
	v_add_f64 v[10:11], v[88:89], v[10:11]
	buffer_store_dword v108, off, s[60:63], 0 offset:136 ; 4-byte Folded Spill
	s_nop 0
	buffer_store_dword v109, off, s[60:63], 0 offset:140 ; 4-byte Folded Spill
	buffer_store_dword v110, off, s[60:63], 0 offset:152 ; 4-byte Folded Spill
	s_nop 0
	buffer_store_dword v111, off, s[60:63], 0 offset:156 ; 4-byte Folded Spill
	v_mul_f64 v[66:67], v[100:101], s[46:47]
	v_mul_f64 v[88:89], v[124:125], s[48:49]
	buffer_store_dword v66, off, s[60:63], 0 offset:216 ; 4-byte Folded Spill
	s_nop 0
	buffer_store_dword v67, off, s[60:63], 0 offset:220 ; 4-byte Folded Spill
	buffer_store_dword v88, off, s[60:63], 0 offset:224 ; 4-byte Folded Spill
	s_nop 0
	buffer_store_dword v89, off, s[60:63], 0 offset:228 ; 4-byte Folded Spill
	v_add_f64 v[4:5], v[58:59], v[4:5]
	v_add_f64 v[6:7], v[64:65], v[6:7]
	v_fma_f64 v[56:57], v[172:173], s[16:17], v[98:99]
	v_mul_f64 v[98:99], v[100:101], s[48:49]
	buffer_store_dword v98, off, s[60:63], 0 offset:320 ; 4-byte Folded Spill
	s_nop 0
	buffer_store_dword v99, off, s[60:63], 0 offset:324 ; 4-byte Folded Spill
	v_fma_f64 v[58:59], v[174:175], s[16:17], -v[108:109]
	v_fma_f64 v[64:65], v[172:173], s[22:23], v[110:111]
	v_add_f64 v[0:1], v[56:57], v[0:1]
	v_fma_f64 v[56:57], v[174:175], s[22:23], -v[66:67]
	v_mul_f64 v[66:67], v[158:159], s[34:35]
	buffer_store_dword v66, off, s[60:63], 0 offset:184 ; 4-byte Folded Spill
	s_nop 0
	buffer_store_dword v67, off, s[60:63], 0 offset:188 ; 4-byte Folded Spill
	v_add_f64 v[2:3], v[58:59], v[2:3]
	v_add_f64 v[4:5], v[64:65], v[4:5]
	v_fma_f64 v[58:59], v[172:173], s[10:11], v[88:89]
	v_mul_f64 v[88:89], v[120:121], s[34:35]
	buffer_store_dword v88, off, s[60:63], 0 offset:192 ; 4-byte Folded Spill
	s_nop 0
	buffer_store_dword v89, off, s[60:63], 0 offset:196 ; 4-byte Folded Spill
	v_mul_f64 v[108:109], v[120:121], s[42:43]
	v_mul_f64 v[110:111], v[158:159], s[26:27]
	v_add_f64 v[6:7], v[56:57], v[6:7]
	v_add_f64 v[8:9], v[58:59], v[8:9]
	v_fma_f64 v[64:65], v[174:175], s[10:11], -v[98:99]
	v_mul_f64 v[98:99], v[158:159], s[42:43]
	buffer_store_dword v98, off, s[60:63], 0 offset:200 ; 4-byte Folded Spill
	s_nop 0
	buffer_store_dword v99, off, s[60:63], 0 offset:204 ; 4-byte Folded Spill
	v_add_f64 v[10:11], v[64:65], v[10:11]
	buffer_store_dword v108, off, s[60:63], 0 offset:288 ; 4-byte Folded Spill
	s_nop 0
	buffer_store_dword v109, off, s[60:63], 0 offset:292 ; 4-byte Folded Spill
	buffer_store_dword v110, off, s[60:63], 0 offset:304 ; 4-byte Folded Spill
	s_nop 0
	buffer_store_dword v111, off, s[60:63], 0 offset:308 ; 4-byte Folded Spill
	;; [unrolled: 3-line block ×3, first 2 shown]
	v_fma_f64 v[56:57], v[193:194], s[20:21], v[66:67]
	v_add_f64 v[0:1], v[56:57], v[0:1]
	v_fma_f64 v[58:59], v[195:196], s[20:21], -v[88:89]
	v_add_f64 v[2:3], v[58:59], v[2:3]
	v_fma_f64 v[64:65], v[193:194], s[16:17], v[98:99]
	v_mul_f64 v[98:99], v[176:177], s[52:53]
	buffer_store_dword v98, off, s[60:63], 0 offset:248 ; 4-byte Folded Spill
	s_nop 0
	buffer_store_dword v99, off, s[60:63], 0 offset:252 ; 4-byte Folded Spill
	v_fma_f64 v[66:67], v[195:196], s[16:17], -v[108:109]
	v_fma_f64 v[88:89], v[193:194], s[0:1], v[110:111]
	v_mul_f64 v[108:109], v[152:153], s[52:53]
	buffer_store_dword v108, off, s[60:63], 0 offset:256 ; 4-byte Folded Spill
	s_nop 0
	buffer_store_dword v109, off, s[60:63], 0 offset:260 ; 4-byte Folded Spill
	v_add_f64 v[6:7], v[66:67], v[6:7]
	v_add_f64 v[8:9], v[88:89], v[8:9]
	v_mul_f64 v[66:67], v[176:177], s[54:55]
	v_mul_f64 v[88:89], v[176:177], s[36:37]
	buffer_store_dword v66, off, s[60:63], 0 offset:272 ; 4-byte Folded Spill
	s_nop 0
	buffer_store_dword v67, off, s[60:63], 0 offset:276 ; 4-byte Folded Spill
	v_add_f64 v[4:5], v[64:65], v[4:5]
	v_fma_f64 v[56:57], v[195:196], s[0:1], -v[112:113]
	v_mul_f64 v[110:111], v[152:153], s[36:37]
	v_mul_f64 v[112:113], v[100:101], s[30:31]
	v_add_f64 v[10:11], v[56:57], v[10:11]
	v_fma_f64 v[58:59], v[207:208], s[22:23], v[98:99]
	v_mul_f64 v[98:99], v[152:153], s[54:55]
	buffer_store_dword v98, off, s[60:63], 0 offset:376 ; 4-byte Folded Spill
	s_nop 0
	buffer_store_dword v99, off, s[60:63], 0 offset:380 ; 4-byte Folded Spill
	buffer_store_dword v88, off, s[60:63], 0 offset:352 ; 4-byte Folded Spill
	s_nop 0
	buffer_store_dword v89, off, s[60:63], 0 offset:356 ; 4-byte Folded Spill
	v_fma_f64 v[64:65], v[211:212], s[22:23], -v[108:109]
	v_add_f64 v[0:1], v[58:59], v[0:1]
	v_mul_f64 v[108:109], v[178:179], s[50:51]
	buffer_store_dword v110, off, s[60:63], 0 offset:416 ; 4-byte Folded Spill
	s_nop 0
	buffer_store_dword v111, off, s[60:63], 0 offset:420 ; 4-byte Folded Spill
	v_add_f64 v[2:3], v[64:65], v[2:3]
	v_fma_f64 v[56:57], v[207:208], s[2:3], v[66:67]
	v_mul_f64 v[66:67], v[180:181], s[38:39]
	buffer_store_dword v66, off, s[60:63], 0 offset:336 ; 4-byte Folded Spill
	s_nop 0
	buffer_store_dword v67, off, s[60:63], 0 offset:340 ; 4-byte Folded Spill
	v_add_f64 v[4:5], v[56:57], v[4:5]
	v_fma_f64 v[58:59], v[211:212], s[2:3], -v[98:99]
	v_fma_f64 v[64:65], v[207:208], s[6:7], v[88:89]
	v_mul_f64 v[88:89], v[178:179], s[38:39]
	v_mul_f64 v[98:99], v[180:181], s[50:51]
	buffer_store_dword v88, off, s[60:63], 0 offset:344 ; 4-byte Folded Spill
	s_nop 0
	buffer_store_dword v89, off, s[60:63], 0 offset:348 ; 4-byte Folded Spill
	buffer_store_dword v98, off, s[60:63], 0 offset:360 ; 4-byte Folded Spill
	s_nop 0
	buffer_store_dword v99, off, s[60:63], 0 offset:364 ; 4-byte Folded Spill
	;; [unrolled: 3-line block ×3, first 2 shown]
	v_add_f64 v[6:7], v[58:59], v[6:7]
	v_add_f64 v[8:9], v[64:65], v[8:9]
	buffer_store_dword v96, off, s[60:63], 0 offset:24 ; 4-byte Folded Spill
	s_nop 0
	buffer_store_dword v97, off, s[60:63], 0 offset:28 ; 4-byte Folded Spill
	v_fma_f64 v[56:57], v[211:212], s[6:7], -v[110:111]
	v_mul_f64 v[110:111], v[235:236], s[42:43]
	v_fma_f64 v[58:59], v[221:222], s[24:25], v[66:67]
	v_add_f64 v[10:11], v[56:57], v[10:11]
	v_add_f64 v[217:218], v[58:59], v[0:1]
	v_fma_f64 v[64:65], v[223:224], s[24:25], -v[88:89]
	v_fma_f64 v[66:67], v[221:222], s[0:1], v[98:99]
	v_fma_f64 v[88:89], v[223:224], s[0:1], -v[108:109]
	v_mul_f64 v[98:99], v[180:181], s[52:53]
	v_mul_f64 v[108:109], v[178:179], s[52:53]
	buffer_store_dword v98, off, s[60:63], 0 offset:400 ; 4-byte Folded Spill
	s_nop 0
	buffer_store_dword v99, off, s[60:63], 0 offset:404 ; 4-byte Folded Spill
	buffer_store_dword v108, off, s[60:63], 0 offset:408 ; 4-byte Folded Spill
	s_nop 0
	buffer_store_dword v109, off, s[60:63], 0 offset:412 ; 4-byte Folded Spill
	v_fma_f64 v[56:57], v[102:103], s[6:7], v[96:97]
	v_add_f64 v[219:220], v[64:65], v[2:3]
	v_add_f64 v[227:228], v[66:67], v[4:5]
	v_mul_f64 v[4:5], v[233:234], s[38:39]
	v_mul_f64 v[96:97], v[158:159], s[52:53]
	v_add_f64 v[229:230], v[88:89], v[6:7]
	v_fma_f64 v[88:89], v[126:127], s[22:23], -v[150:151]
	s_load_dwordx2 s[18:19], s[4:5], 0x20
	s_load_dwordx2 s[8:9], s[4:5], 0x8
	v_add_f64 v[56:57], v[12:13], v[56:57]
	s_waitcnt vmcnt(0) lgkmcnt(0)
	s_barrier
	v_fma_f64 v[58:59], v[221:222], s[22:23], v[98:99]
	v_fma_f64 v[64:65], v[223:224], s[22:23], -v[108:109]
	v_mul_f64 v[98:99], v[225:226], s[38:39]
	v_mul_f64 v[108:109], v[239:240], s[50:51]
	v_add_f64 v[241:242], v[58:59], v[8:9]
	v_add_f64 v[243:244], v[64:65], v[10:11]
	v_fma_f64 v[58:59], v[122:123], s[24:25], v[4:5]
	v_fma_f64 v[64:65], v[104:105], s[6:7], -v[245:246]
	v_mul_f64 v[10:11], v[106:107], s[50:51]
	v_add_f64 v[56:57], v[58:59], v[56:57]
	v_add_f64 v[58:59], v[14:15], v[64:65]
	v_fma_f64 v[64:65], v[126:127], s[24:25], -v[98:99]
	v_add_f64 v[58:59], v[64:65], v[58:59]
	v_fma_f64 v[64:65], v[142:143], s[16:17], v[249:250]
	v_add_f64 v[56:57], v[64:65], v[56:57]
	v_fma_f64 v[64:65], v[144:145], s[16:17], -v[110:111]
	v_add_f64 v[58:59], v[64:65], v[58:59]
	v_fma_f64 v[64:65], v[156:157], s[0:1], v[10:11]
	;; [unrolled: 4-line block ×7, first 2 shown]
	v_fma_f64 v[58:59], v[122:123], s[22:23], v[130:131]
	v_add_f64 v[56:57], v[12:13], v[56:57]
	v_add_f64 v[56:57], v[58:59], v[56:57]
	v_fma_f64 v[58:59], v[104:105], s[16:17], -v[148:149]
	v_add_f64 v[58:59], v[14:15], v[58:59]
	v_add_f64 v[58:59], v[88:89], v[58:59]
	v_fma_f64 v[88:89], v[142:143], s[10:11], v[134:135]
	v_add_f64 v[56:57], v[88:89], v[56:57]
	v_fma_f64 v[88:89], v[144:145], s[10:11], -v[162:163]
	v_add_f64 v[58:59], v[88:89], v[58:59]
	v_fma_f64 v[88:89], v[156:157], s[2:3], v[132:133]
	v_add_f64 v[56:57], v[88:89], v[56:57]
	v_fma_f64 v[88:89], v[160:161], s[2:3], -v[154:155]
	;; [unrolled: 4-line block ×6, first 2 shown]
	v_add_f64 v[58:59], v[88:89], v[58:59]
	s_and_saveexec_b64 s[4:5], vcc
	s_cbranch_execz .LBB0_7
; %bb.6:
	buffer_store_dword v92, off, s[60:63], 0 offset:432 ; 4-byte Folded Spill
	s_nop 0
	buffer_store_dword v93, off, s[60:63], 0 offset:436 ; 4-byte Folded Spill
	v_mul_f64 v[92:93], v[104:105], s[24:25]
	buffer_store_dword v94, off, s[60:63], 0 offset:440 ; 4-byte Folded Spill
	s_nop 0
	buffer_store_dword v95, off, s[60:63], 0 offset:444 ; 4-byte Folded Spill
	v_mul_f64 v[94:95], v[126:127], s[0:1]
	buffer_store_dword v90, off, s[60:63], 0 offset:424 ; 4-byte Folded Spill
	s_nop 0
	buffer_store_dword v91, off, s[60:63], 0 offset:428 ; 4-byte Folded Spill
	buffer_store_dword v185, off, s[60:63], 0 offset:448 ; 4-byte Folded Spill
	s_nop 0
	buffer_store_dword v186, off, s[60:63], 0 offset:452 ; 4-byte Folded Spill
	v_mul_f64 v[185:186], v[215:216], s[38:39]
	buffer_store_dword v187, off, s[60:63], 0 offset:496 ; 4-byte Folded Spill
	s_nop 0
	buffer_store_dword v188, off, s[60:63], 0 offset:500 ; 4-byte Folded Spill
	v_mul_f64 v[187:188], v[233:234], s[50:51]
	v_fma_f64 v[88:89], v[197:198], s[44:45], v[92:93]
	buffer_store_dword v189, off, s[60:63], 0 offset:456 ; 4-byte Folded Spill
	s_nop 0
	buffer_store_dword v190, off, s[60:63], 0 offset:460 ; 4-byte Folded Spill
	v_fma_f64 v[90:91], v[225:226], s[26:27], v[94:95]
	buffer_store_dword v191, off, s[60:63], 0 offset:464 ; 4-byte Folded Spill
	s_nop 0
	buffer_store_dword v192, off, s[60:63], 0 offset:468 ; 4-byte Folded Spill
	buffer_store_dword v199, off, s[60:63], 0 offset:472 ; 4-byte Folded Spill
	s_nop 0
	buffer_store_dword v200, off, s[60:63], 0 offset:476 ; 4-byte Folded Spill
	;; [unrolled: 3-line block ×3, first 2 shown]
	v_fma_f64 v[92:93], v[197:198], s[38:39], v[92:93]
	v_fma_f64 v[189:190], v[122:123], s[0:1], v[187:188]
	v_add_f64 v[88:89], v[14:15], v[88:89]
	buffer_store_dword v203, off, s[60:63], 0 offset:520 ; 4-byte Folded Spill
	s_nop 0
	buffer_store_dword v204, off, s[60:63], 0 offset:524 ; 4-byte Folded Spill
	v_fma_f64 v[94:95], v[225:226], s[50:51], v[94:95]
	buffer_store_dword v205, off, s[60:63], 0 offset:504 ; 4-byte Folded Spill
	s_nop 0
	buffer_store_dword v206, off, s[60:63], 0 offset:508 ; 4-byte Folded Spill
	buffer_store_dword v209, off, s[60:63], 0 offset:480 ; 4-byte Folded Spill
	s_nop 0
	buffer_store_dword v210, off, s[60:63], 0 offset:484 ; 4-byte Folded Spill
	v_mov_b32_e32 v183, v213
	v_add_f64 v[92:93], v[14:15], v[92:93]
	v_mov_b32_e32 v255, v214
	v_add_f64 v[88:89], v[90:91], v[88:89]
	v_fma_f64 v[90:91], v[102:103], s[24:25], v[185:186]
	buffer_store_dword v217, off, s[60:63], 0 offset:8 ; 4-byte Folded Spill
	s_nop 0
	buffer_store_dword v218, off, s[60:63], 0 offset:12 ; 4-byte Folded Spill
	buffer_store_dword v219, off, s[60:63], 0 offset:16 ; 4-byte Folded Spill
	;; [unrolled: 1-line block ×3, first 2 shown]
	v_mov_b32_e32 v6, v227
	buffer_store_dword v231, off, s[60:63], 0 offset:488 ; 4-byte Folded Spill
	s_nop 0
	buffer_store_dword v232, off, s[60:63], 0 offset:492 ; 4-byte Folded Spill
	v_mov_b32_e32 v7, v228
	v_add_f64 v[92:93], v[94:95], v[92:93]
	v_fma_f64 v[94:95], v[102:103], s[24:25], -v[185:186]
	v_fma_f64 v[185:186], v[122:123], s[0:1], -v[187:188]
	v_add_f64 v[90:91], v[12:13], v[90:91]
	v_mov_b32_e32 v8, v229
	v_mov_b32_e32 v9, v230
	v_mul_f64 v[229:230], v[223:224], s[6:7]
	v_mul_f64 v[231:232], v[180:181], s[56:57]
	v_add_f64 v[80:81], v[12:13], v[80:81]
	v_add_f64 v[94:95], v[12:13], v[94:95]
	;; [unrolled: 1-line block ×4, first 2 shown]
	v_mul_f64 v[189:190], v[144:145], s[22:23]
	v_mov_b32_e32 v0, v241
	v_mov_b32_e32 v1, v242
	v_fma_f64 v[187:188], v[221:222], s[6:7], -v[231:232]
	v_add_f64 v[84:85], v[80:81], v[84:85]
	v_add_f64 v[94:95], v[185:186], v[94:95]
	;; [unrolled: 1-line block ×3, first 2 shown]
	v_mov_b32_e32 v2, v243
	v_fma_f64 v[191:192], v[235:236], s[46:47], v[189:190]
	v_fma_f64 v[185:186], v[235:236], s[52:53], v[189:190]
	v_mul_f64 v[189:190], v[144:145], s[6:7]
	v_mov_b32_e32 v3, v244
	v_add_f64 v[84:85], v[84:85], v[76:77]
	v_mul_f64 v[241:242], v[223:224], s[16:17]
	v_add_f64 v[86:87], v[86:87], v[78:79]
	v_mul_f64 v[243:244], v[180:181], s[40:41]
	;; [unrolled: 2-line block ×4, first 2 shown]
	v_add_f64 v[84:85], v[84:85], v[72:73]
	v_add_f64 v[86:87], v[86:87], v[74:75]
	v_fma_f64 v[199:200], v[142:143], s[22:23], v[191:192]
	v_fma_f64 v[185:186], v[142:143], s[22:23], -v[191:192]
	v_mul_f64 v[191:192], v[160:161], s[20:21]
	v_add_f64 v[84:85], v[84:85], v[68:69]
	v_add_f64 v[86:87], v[86:87], v[70:71]
	;; [unrolled: 1-line block ×3, first 2 shown]
	v_mul_f64 v[199:200], v[160:161], s[10:11]
	v_add_f64 v[94:95], v[185:186], v[94:95]
	v_add_f64 v[60:61], v[84:85], v[60:61]
	v_mul_f64 v[84:85], v[104:105], s[16:17]
	v_fma_f64 v[201:202], v[239:240], s[28:29], v[199:200]
	v_fma_f64 v[185:186], v[239:240], s[48:49], v[199:200]
	v_mul_f64 v[199:200], v[174:175], s[0:1]
	v_add_f64 v[84:85], v[148:149], v[84:85]
	v_mul_f64 v[148:149], v[160:161], s[6:7]
	v_add_f64 v[16:17], v[60:61], v[16:17]
	v_add_f64 v[88:89], v[201:202], v[88:89]
	v_mul_f64 v[201:202], v[106:107], s[48:49]
	v_add_f64 v[92:93], v[185:186], v[92:93]
	v_add_f64 v[84:85], v[14:15], v[84:85]
	;; [unrolled: 1-line block ×3, first 2 shown]
	v_fma_f64 v[203:204], v[156:157], s[10:11], v[201:202]
	v_fma_f64 v[185:186], v[156:157], s[10:11], -v[201:202]
	v_mul_f64 v[201:202], v[195:196], s[24:25]
	v_add_f64 v[16:17], v[16:17], v[24:25]
	v_add_f64 v[90:91], v[203:204], v[90:91]
	v_mul_f64 v[203:204], v[174:175], s[20:21]
	v_add_f64 v[94:95], v[185:186], v[94:95]
	v_add_f64 v[16:17], v[16:17], v[28:29]
	v_fma_f64 v[205:206], v[100:101], s[58:59], v[203:204]
	v_fma_f64 v[185:186], v[100:101], s[34:35], v[203:204]
	v_mul_f64 v[203:204], v[211:212], s[10:11]
	v_add_f64 v[16:17], v[16:17], v[32:33]
	v_add_f64 v[88:89], v[205:206], v[88:89]
	v_mul_f64 v[205:206], v[124:125], s[34:35]
	v_add_f64 v[92:93], v[185:186], v[92:93]
	v_add_f64 v[16:17], v[16:17], v[36:37]
	v_fma_f64 v[209:210], v[172:173], s[20:21], v[205:206]
	v_fma_f64 v[185:186], v[172:173], s[20:21], -v[205:206]
	v_mul_f64 v[205:206], v[215:216], s[52:53]
	v_add_f64 v[16:17], v[16:17], v[40:41]
	v_add_f64 v[90:91], v[209:210], v[90:91]
	v_mul_f64 v[209:210], v[195:196], s[2:3]
	v_add_f64 v[94:95], v[185:186], v[94:95]
	v_add_f64 v[16:17], v[16:17], v[44:45]
	v_fma_f64 v[213:214], v[120:121], s[30:31], v[209:210]
	v_fma_f64 v[185:186], v[120:121], s[54:55], v[209:210]
	v_mul_f64 v[209:210], v[233:234], s[54:55]
	v_add_f64 v[16:17], v[16:17], v[48:49]
	v_add_f64 v[88:89], v[213:214], v[88:89]
	v_mul_f64 v[213:214], v[158:159], s[54:55]
	v_add_f64 v[92:93], v[185:186], v[92:93]
	v_fma_f64 v[217:218], v[193:194], s[2:3], v[213:214]
	v_add_f64 v[90:91], v[217:218], v[90:91]
	v_mul_f64 v[217:218], v[211:212], s[16:17]
	v_fma_f64 v[219:220], v[152:153], s[42:43], v[217:218]
	v_fma_f64 v[185:186], v[152:153], s[40:41], v[217:218]
	v_add_f64 v[88:89], v[219:220], v[88:89]
	v_mul_f64 v[219:220], v[176:177], s[40:41]
	v_add_f64 v[92:93], v[185:186], v[92:93]
	v_fma_f64 v[185:186], v[193:194], s[2:3], -v[213:214]
	v_fma_f64 v[213:214], v[122:123], s[2:3], v[209:210]
	v_fma_f64 v[227:228], v[207:208], s[16:17], v[219:220]
	v_add_f64 v[94:95], v[185:186], v[94:95]
	v_fma_f64 v[185:186], v[207:208], s[16:17], -v[219:220]
	v_add_f64 v[227:228], v[227:228], v[90:91]
	v_fma_f64 v[90:91], v[178:179], s[36:37], v[229:230]
	v_add_f64 v[185:186], v[185:186], v[94:95]
	v_fma_f64 v[94:95], v[178:179], s[56:57], v[229:230]
	;; [unrolled: 2-line block ×3, first 2 shown]
	v_add_f64 v[94:95], v[94:95], v[92:93]
	v_add_f64 v[92:93], v[187:188], v[185:186]
	v_mul_f64 v[185:186], v[104:105], s[22:23]
	v_mul_f64 v[187:188], v[126:127], s[2:3]
	v_add_f64 v[88:89], v[88:89], v[227:228]
	v_fma_f64 v[80:81], v[197:198], s[46:47], v[185:186]
	v_fma_f64 v[82:83], v[225:226], s[30:31], v[187:188]
	;; [unrolled: 1-line block ×4, first 2 shown]
	v_fma_f64 v[185:186], v[122:123], s[2:3], -v[209:210]
	v_fma_f64 v[187:188], v[221:222], s[16:17], -v[243:244]
	v_mul_f64 v[209:210], v[233:234], s[42:43]
	v_add_f64 v[80:81], v[14:15], v[80:81]
	v_add_f64 v[76:77], v[14:15], v[76:77]
	;; [unrolled: 1-line block ×3, first 2 shown]
	v_fma_f64 v[82:83], v[235:236], s[56:57], v[189:190]
	v_add_f64 v[76:77], v[78:79], v[76:77]
	v_fma_f64 v[78:79], v[235:236], s[36:37], v[189:190]
	v_mul_f64 v[189:190], v[144:145], s[0:1]
	v_add_f64 v[80:81], v[82:83], v[80:81]
	v_fma_f64 v[82:83], v[239:240], s[34:35], v[191:192]
	v_add_f64 v[76:77], v[78:79], v[76:77]
	v_fma_f64 v[78:79], v[239:240], s[58:59], v[191:192]
	v_mul_f64 v[191:192], v[160:161], s[22:23]
	v_fma_f64 v[70:71], v[235:236], s[26:27], v[189:190]
	v_add_f64 v[80:81], v[82:83], v[80:81]
	v_fma_f64 v[82:83], v[100:101], s[50:51], v[199:200]
	v_add_f64 v[76:77], v[78:79], v[76:77]
	v_fma_f64 v[78:79], v[100:101], s[26:27], v[199:200]
	v_mul_f64 v[199:200], v[174:175], s[6:7]
	v_add_f64 v[80:81], v[82:83], v[80:81]
	v_fma_f64 v[82:83], v[120:121], s[44:45], v[201:202]
	v_add_f64 v[76:77], v[78:79], v[76:77]
	v_fma_f64 v[78:79], v[120:121], s[38:39], v[201:202]
	v_mul_f64 v[201:202], v[195:196], s[10:11]
	;; [unrolled: 5-line block ×3, first 2 shown]
	v_add_f64 v[80:81], v[82:83], v[80:81]
	v_fma_f64 v[82:83], v[102:103], s[22:23], v[205:206]
	v_add_f64 v[76:77], v[78:79], v[76:77]
	v_fma_f64 v[78:79], v[102:103], s[22:23], -v[205:206]
	v_mul_f64 v[205:206], v[215:216], s[34:35]
	v_add_f64 v[82:83], v[12:13], v[82:83]
	v_add_f64 v[78:79], v[12:13], v[78:79]
	;; [unrolled: 1-line block ×3, first 2 shown]
	v_mul_f64 v[213:214], v[237:238], s[36:37]
	v_add_f64 v[78:79], v[185:186], v[78:79]
	v_fma_f64 v[217:218], v[142:143], s[6:7], v[213:214]
	v_fma_f64 v[185:186], v[142:143], s[6:7], -v[213:214]
	v_fma_f64 v[213:214], v[122:123], s[16:17], v[209:210]
	v_add_f64 v[82:83], v[217:218], v[82:83]
	v_mul_f64 v[217:218], v[106:107], s[58:59]
	v_add_f64 v[78:79], v[185:186], v[78:79]
	v_mul_f64 v[106:107], v[106:107], s[52:53]
	v_fma_f64 v[219:220], v[156:157], s[20:21], v[217:218]
	v_fma_f64 v[185:186], v[156:157], s[20:21], -v[217:218]
	v_mul_f64 v[217:218], v[223:224], s[2:3]
	v_add_f64 v[82:83], v[219:220], v[82:83]
	v_mul_f64 v[219:220], v[124:125], s[26:27]
	v_add_f64 v[78:79], v[185:186], v[78:79]
	v_mul_f64 v[124:125], v[124:125], s[56:57]
	v_fma_f64 v[227:228], v[172:173], s[0:1], v[219:220]
	v_fma_f64 v[185:186], v[172:173], s[0:1], -v[219:220]
	v_add_f64 v[82:83], v[227:228], v[82:83]
	v_mul_f64 v[227:228], v[158:159], s[38:39]
	v_add_f64 v[78:79], v[185:186], v[78:79]
	v_mul_f64 v[158:159], v[158:159], s[28:29]
	v_fma_f64 v[229:230], v[193:194], s[24:25], v[227:228]
	v_fma_f64 v[185:186], v[193:194], s[24:25], -v[227:228]
	v_add_f64 v[82:83], v[229:230], v[82:83]
	v_mul_f64 v[229:230], v[176:177], s[48:49]
	v_add_f64 v[78:79], v[185:186], v[78:79]
	v_mul_f64 v[176:177], v[176:177], s[38:39]
	v_fma_f64 v[185:186], v[207:208], s[10:11], -v[229:230]
	v_fma_f64 v[231:232], v[207:208], s[10:11], v[229:230]
	v_mov_b32_e32 v230, v9
	v_mov_b32_e32 v229, v8
	;; [unrolled: 1-line block ×4, first 2 shown]
	v_add_f64 v[185:186], v[185:186], v[78:79]
	v_fma_f64 v[78:79], v[178:179], s[40:41], v[241:242]
	v_add_f64 v[231:232], v[231:232], v[82:83]
	v_fma_f64 v[82:83], v[178:179], s[42:43], v[241:242]
	v_add_f64 v[78:79], v[78:79], v[76:77]
	v_add_f64 v[76:77], v[187:188], v[185:186]
	v_mul_f64 v[185:186], v[104:105], s[20:21]
	v_mul_f64 v[187:188], v[126:127], s[16:17]
	v_add_f64 v[82:83], v[82:83], v[80:81]
	v_fma_f64 v[80:81], v[221:222], s[16:17], v[243:244]
	v_mov_b32_e32 v244, v3
	v_mov_b32_e32 v243, v2
	;; [unrolled: 1-line block ×4, first 2 shown]
	v_fma_f64 v[72:73], v[197:198], s[58:59], v[185:186]
	v_fma_f64 v[74:75], v[225:226], s[40:41], v[187:188]
	v_fma_f64 v[68:69], v[197:198], s[34:35], v[185:186]
	v_fma_f64 v[185:186], v[225:226], s[42:43], v[187:188]
	v_add_f64 v[80:81], v[80:81], v[231:232]
	v_add_f64 v[72:73], v[14:15], v[72:73]
	;; [unrolled: 1-line block ×4, first 2 shown]
	v_fma_f64 v[74:75], v[235:236], s[50:51], v[189:190]
	v_add_f64 v[68:69], v[185:186], v[68:69]
	v_fma_f64 v[185:186], v[239:240], s[52:53], v[191:192]
	v_add_f64 v[72:73], v[74:75], v[72:73]
	v_fma_f64 v[74:75], v[239:240], s[46:47], v[191:192]
	v_add_f64 v[68:69], v[70:71], v[68:69]
	v_fma_f64 v[70:71], v[100:101], s[56:57], v[199:200]
	v_add_f64 v[72:73], v[74:75], v[72:73]
	v_fma_f64 v[74:75], v[100:101], s[36:37], v[199:200]
	v_add_f64 v[68:69], v[185:186], v[68:69]
	v_fma_f64 v[100:101], v[120:121], s[28:29], v[201:202]
	v_add_f64 v[72:73], v[74:75], v[72:73]
	v_fma_f64 v[74:75], v[120:121], s[48:49], v[201:202]
	v_add_f64 v[68:69], v[70:71], v[68:69]
	v_fma_f64 v[70:71], v[152:153], s[38:39], v[203:204]
	v_fma_f64 v[120:121], v[122:123], s[16:17], -v[209:210]
	v_add_f64 v[72:73], v[74:75], v[72:73]
	v_fma_f64 v[74:75], v[152:153], s[44:45], v[203:204]
	v_add_f64 v[68:69], v[100:101], v[68:69]
	v_fma_f64 v[100:101], v[178:179], s[54:55], v[217:218]
	v_mul_f64 v[152:153], v[160:161], s[24:25]
	v_add_f64 v[72:73], v[74:75], v[72:73]
	v_fma_f64 v[74:75], v[102:103], s[20:21], v[205:206]
	v_add_f64 v[68:69], v[70:71], v[68:69]
	v_fma_f64 v[70:71], v[102:103], s[20:21], -v[205:206]
	v_add_f64 v[74:75], v[12:13], v[74:75]
	v_add_f64 v[70:71], v[12:13], v[70:71]
	;; [unrolled: 1-line block ×3, first 2 shown]
	v_mul_f64 v[213:214], v[237:238], s[26:27]
	v_add_f64 v[70:71], v[120:121], v[70:71]
	v_fma_f64 v[215:216], v[142:143], s[0:1], v[213:214]
	v_fma_f64 v[120:121], v[142:143], s[0:1], -v[213:214]
	v_mov_b32_e32 v214, v255
	v_mov_b32_e32 v213, v183
	v_add_f64 v[74:75], v[215:216], v[74:75]
	v_fma_f64 v[215:216], v[156:157], s[22:23], v[106:107]
	v_add_f64 v[70:71], v[120:121], v[70:71]
	v_fma_f64 v[106:107], v[156:157], s[22:23], -v[106:107]
	v_fma_f64 v[120:121], v[221:222], s[2:3], -v[180:181]
	v_add_f64 v[74:75], v[215:216], v[74:75]
	v_fma_f64 v[215:216], v[172:173], s[6:7], v[124:125]
	v_add_f64 v[70:71], v[106:107], v[70:71]
	v_fma_f64 v[106:107], v[172:173], s[6:7], -v[124:125]
	v_mul_f64 v[124:125], v[126:127], s[24:25]
	v_add_f64 v[74:75], v[215:216], v[74:75]
	v_fma_f64 v[215:216], v[193:194], s[10:11], v[158:159]
	v_add_f64 v[70:71], v[106:107], v[70:71]
	v_fma_f64 v[106:107], v[193:194], s[10:11], -v[158:159]
	v_add_f64 v[98:99], v[98:99], v[124:125]
	v_mul_f64 v[124:125], v[174:175], s[10:11]
	v_mul_f64 v[158:159], v[174:175], s[22:23]
	v_add_f64 v[74:75], v[215:216], v[74:75]
	v_fma_f64 v[215:216], v[207:208], s[24:25], v[176:177]
	v_add_f64 v[70:71], v[106:107], v[70:71]
	v_fma_f64 v[106:107], v[207:208], s[24:25], -v[176:177]
	v_mul_f64 v[176:177], v[221:222], s[0:1]
	v_add_f64 v[215:216], v[215:216], v[74:75]
	v_fma_f64 v[74:75], v[178:179], s[30:31], v[217:218]
	v_add_f64 v[106:107], v[106:107], v[70:71]
	v_add_f64 v[70:71], v[100:101], v[68:69]
	;; [unrolled: 1-line block ×3, first 2 shown]
	v_mul_f64 v[86:87], v[126:127], s[22:23]
	v_mul_f64 v[62:63], v[144:145], s[10:11]
	buffer_load_dword v217, off, s[60:63], 0 offset:8 ; 4-byte Folded Reload
	buffer_load_dword v218, off, s[60:63], 0 offset:12 ; 4-byte Folded Reload
	;; [unrolled: 1-line block ×6, first 2 shown]
	v_add_f64 v[74:75], v[74:75], v[72:73]
	v_add_f64 v[68:69], v[120:121], v[106:107]
	v_mul_f64 v[106:107], v[102:103], s[16:17]
	v_mul_f64 v[120:121], v[122:123], s[22:23]
	v_add_f64 v[86:87], v[150:151], v[86:87]
	v_add_f64 v[62:63], v[162:163], v[62:63]
	v_fma_f64 v[72:73], v[221:222], s[2:3], v[180:181]
	v_mul_f64 v[180:181], v[221:222], s[22:23]
	v_mul_f64 v[150:151], v[156:157], s[24:25]
	v_add_f64 v[18:19], v[100:101], v[18:19]
	v_add_f64 v[106:107], v[106:107], -v[128:129]
	v_add_f64 v[120:121], v[120:121], -v[130:131]
	v_add_f64 v[84:85], v[86:87], v[84:85]
	v_mul_f64 v[86:87], v[160:161], s[2:3]
	v_mul_f64 v[128:129], v[211:212], s[6:7]
	;; [unrolled: 1-line block ×4, first 2 shown]
	v_add_f64 v[18:19], v[18:19], v[22:23]
	v_add_f64 v[106:107], v[12:13], v[106:107]
	v_mul_f64 v[162:163], v[193:194], s[16:17]
	v_add_f64 v[62:63], v[62:63], v[84:85]
	v_add_f64 v[86:87], v[154:155], v[86:87]
	v_mul_f64 v[84:85], v[174:175], s[24:25]
	v_mul_f64 v[154:155], v[172:173], s[16:17]
	v_add_f64 v[72:73], v[72:73], v[215:216]
	v_add_f64 v[18:19], v[18:19], v[26:27]
	;; [unrolled: 1-line block ×3, first 2 shown]
	v_mul_f64 v[120:121], v[156:157], s[2:3]
	v_add_f64 v[62:63], v[86:87], v[62:63]
	v_add_f64 v[84:85], v[164:165], v[84:85]
	v_mul_f64 v[86:87], v[195:196], s[6:7]
	v_mul_f64 v[164:165], v[195:196], s[16:17]
	v_add_f64 v[18:19], v[18:19], v[30:31]
	v_add_f64 v[120:121], v[120:121], -v[132:133]
	v_mul_f64 v[132:133], v[122:123], s[10:11]
	v_add_f64 v[62:63], v[84:85], v[62:63]
	v_add_f64 v[86:87], v[166:167], v[86:87]
	v_mul_f64 v[84:85], v[211:212], s[0:1]
	v_mul_f64 v[166:167], v[193:194], s[0:1]
	v_add_f64 v[18:19], v[18:19], v[34:35]
	v_add_f64 v[62:63], v[86:87], v[62:63]
	;; [unrolled: 1-line block ×3, first 2 shown]
	v_mul_f64 v[86:87], v[223:224], s[20:21]
	v_mul_f64 v[168:169], v[211:212], s[22:23]
	v_add_f64 v[18:19], v[18:19], v[38:39]
	v_add_f64 v[62:63], v[84:85], v[62:63]
	v_mul_f64 v[84:85], v[142:143], s[10:11]
	v_add_f64 v[86:87], v[170:171], v[86:87]
	v_mul_f64 v[170:171], v[211:212], s[2:3]
	v_add_f64 v[18:19], v[18:19], v[42:43]
	v_add_f64 v[84:85], v[84:85], -v[134:135]
	v_mul_f64 v[134:135], v[126:127], s[10:11]
	v_add_f64 v[62:63], v[86:87], v[62:63]
	v_add_f64 v[18:19], v[18:19], v[46:47]
	;; [unrolled: 1-line block ×3, first 2 shown]
	v_mul_f64 v[106:107], v[172:173], s[24:25]
	v_add_f64 v[34:35], v[18:19], v[50:51]
	v_add_f64 v[84:85], v[120:121], v[84:85]
	v_add_f64 v[106:107], v[106:107], -v[136:137]
	v_mul_f64 v[120:121], v[193:194], s[6:7]
	v_mul_f64 v[136:137], v[142:143], s[2:3]
	v_add_f64 v[84:85], v[106:107], v[84:85]
	v_add_f64 v[120:121], v[120:121], -v[138:139]
	v_mul_f64 v[106:107], v[207:208], s[0:1]
	v_mul_f64 v[138:139], v[142:143], s[24:25]
	;; [unrolled: 4-line block ×3, first 2 shown]
	v_add_f64 v[106:107], v[106:107], v[84:85]
	v_mul_f64 v[84:85], v[144:145], s[16:17]
	v_add_f64 v[120:121], v[120:121], -v[146:147]
	v_mul_f64 v[146:147], v[156:157], s[6:7]
	v_add_f64 v[84:85], v[110:111], v[84:85]
	v_mul_f64 v[110:111], v[104:105], s[6:7]
	v_add_f64 v[110:111], v[245:246], v[110:111]
	v_add_f64 v[110:111], v[14:15], v[110:111]
	;; [unrolled: 1-line block ×3, first 2 shown]
	v_mul_f64 v[110:111], v[160:161], s[0:1]
	v_add_f64 v[84:85], v[84:85], v[98:99]
	v_add_f64 v[108:109], v[108:109], v[110:111]
	v_mul_f64 v[110:111], v[102:103], s[6:7]
	v_mul_f64 v[98:99], v[174:175], s[2:3]
	v_add_f64 v[84:85], v[108:109], v[84:85]
	s_waitcnt vmcnt(0)
	v_add_f64 v[110:111], v[110:111], -v[0:1]
	buffer_load_dword v0, off, s[60:63], 0 offset:520 ; 4-byte Folded Reload
	buffer_load_dword v1, off, s[60:63], 0 offset:524 ; 4-byte Folded Reload
	v_add_f64 v[98:99], v[112:113], v[98:99]
	v_mul_f64 v[108:109], v[195:196], s[22:23]
	v_mul_f64 v[112:113], v[122:123], s[24:25]
	v_add_f64 v[110:111], v[12:13], v[110:111]
	v_add_f64 v[84:85], v[98:99], v[84:85]
	;; [unrolled: 1-line block ×3, first 2 shown]
	v_mul_f64 v[98:99], v[211:212], s[20:21]
	v_add_f64 v[112:113], v[112:113], -v[4:5]
	v_mul_f64 v[114:115], v[193:194], s[22:23]
	v_add_f64 v[84:85], v[108:109], v[84:85]
	v_add_f64 v[98:99], v[116:117], v[98:99]
	;; [unrolled: 1-line block ×3, first 2 shown]
	v_mul_f64 v[112:113], v[156:157], s[0:1]
	v_add_f64 v[96:97], v[114:115], -v[96:97]
	v_mul_f64 v[114:115], v[126:127], s[20:21]
	v_mul_f64 v[116:117], v[207:208], s[20:21]
	;; [unrolled: 1-line block ×4, first 2 shown]
	v_add_f64 v[84:85], v[98:99], v[84:85]
	v_mul_f64 v[98:99], v[142:143], s[16:17]
	v_add_f64 v[112:113], v[112:113], -v[10:11]
	v_mul_f64 v[142:143], v[142:143], s[20:21]
	v_add_f64 v[116:117], v[116:117], -v[251:252]
	v_add_f64 v[108:109], v[118:119], v[108:109]
	v_mul_f64 v[118:119], v[221:222], s[10:11]
	v_add_f64 v[98:99], v[98:99], -v[249:250]
	v_add_f64 v[86:87], v[108:109], v[84:85]
	v_add_f64 v[118:119], v[118:119], -v[247:248]
	v_add_f64 v[98:99], v[98:99], v[110:111]
	v_mul_f64 v[110:111], v[172:173], s[2:3]
	v_add_f64 v[98:99], v[112:113], v[98:99]
	v_mul_f64 v[112:113], v[104:105], s[2:3]
	v_add_f64 v[110:111], v[110:111], -v[253:254]
	v_add_f64 v[98:99], v[110:111], v[98:99]
	v_mul_f64 v[110:111], v[144:145], s[24:25]
	v_mul_f64 v[144:145], v[144:145], s[20:21]
	v_add_f64 v[96:97], v[96:97], v[98:99]
	v_mul_f64 v[98:99], v[104:105], s[0:1]
	v_mul_f64 v[104:105], v[104:105], s[10:11]
	v_add_f64 v[96:97], v[116:117], v[96:97]
	v_mul_f64 v[116:117], v[156:157], s[16:17]
	s_waitcnt vmcnt(0)
	v_add_f64 v[112:113], v[0:1], v[112:113]
	buffer_load_dword v0, off, s[60:63], 0 offset:72 ; 4-byte Folded Reload
	buffer_load_dword v1, off, s[60:63], 0 offset:76 ; 4-byte Folded Reload
	v_mul_f64 v[156:157], v[172:173], s[22:23]
	v_add_f64 v[112:113], v[14:15], v[112:113]
	s_waitcnt vmcnt(0)
	v_add_f64 v[114:115], v[0:1], v[114:115]
	buffer_load_dword v0, off, s[60:63], 0 offset:176 ; 4-byte Folded Reload
	buffer_load_dword v1, off, s[60:63], 0 offset:180 ; 4-byte Folded Reload
	v_add_f64 v[112:113], v[114:115], v[112:113]
	v_mul_f64 v[114:115], v[160:161], s[16:17]
	v_mul_f64 v[160:161], v[172:173], s[10:11]
	;; [unrolled: 1-line block ×3, first 2 shown]
	s_waitcnt vmcnt(0)
	v_add_f64 v[110:111], v[0:1], v[110:111]
	buffer_load_dword v0, off, s[60:63], 0 offset:240 ; 4-byte Folded Reload
	buffer_load_dword v1, off, s[60:63], 0 offset:244 ; 4-byte Folded Reload
	v_add_f64 v[110:111], v[110:111], v[112:113]
	v_mul_f64 v[112:113], v[102:103], s[0:1]
	s_waitcnt vmcnt(0)
	v_add_f64 v[114:115], v[0:1], v[114:115]
	buffer_load_dword v0, off, s[60:63], 0 offset:320 ; 4-byte Folded Reload
	buffer_load_dword v1, off, s[60:63], 0 offset:324 ; 4-byte Folded Reload
	v_add_f64 v[110:111], v[114:115], v[110:111]
	v_mul_f64 v[114:115], v[102:103], s[10:11]
	v_mul_f64 v[102:103], v[102:103], s[2:3]
	s_waitcnt vmcnt(0)
	v_add_f64 v[124:125], v[0:1], v[124:125]
	buffer_load_dword v0, off, s[60:63], 0 offset:416 ; 4-byte Folded Reload
	buffer_load_dword v1, off, s[60:63], 0 offset:420 ; 4-byte Folded Reload
	v_add_f64 v[110:111], v[124:125], v[110:111]
	v_mul_f64 v[124:125], v[122:123], s[6:7]
	v_mul_f64 v[122:123], v[122:123], s[20:21]
	s_waitcnt vmcnt(0)
	v_add_f64 v[128:129], v[0:1], v[128:129]
	buffer_load_dword v0, off, s[60:63], 0 offset:384 ; 4-byte Folded Reload
	buffer_load_dword v1, off, s[60:63], 0 offset:388 ; 4-byte Folded Reload
	s_waitcnt vmcnt(0)
	v_add_f64 v[130:131], v[0:1], v[130:131]
	buffer_load_dword v0, off, s[60:63], 0 offset:208 ; 4-byte Folded Reload
	buffer_load_dword v1, off, s[60:63], 0 offset:212 ; 4-byte Folded Reload
	v_add_f64 v[110:111], v[130:131], v[110:111]
	v_mul_f64 v[130:131], v[223:224], s[22:23]
	v_add_f64 v[110:111], v[128:129], v[110:111]
	s_waitcnt vmcnt(0)
	v_add_f64 v[116:117], v[116:117], -v[0:1]
	buffer_load_dword v0, off, s[60:63], 0 offset:512 ; 4-byte Folded Reload
	buffer_load_dword v1, off, s[60:63], 0 offset:516 ; 4-byte Folded Reload
	s_waitcnt vmcnt(0)
	v_add_f64 v[102:103], v[102:103], -v[0:1]
	buffer_load_dword v0, off, s[60:63], 0 offset:496 ; 4-byte Folded Reload
	buffer_load_dword v1, off, s[60:63], 0 offset:500 ; 4-byte Folded Reload
	v_add_f64 v[102:103], v[12:13], v[102:103]
	s_waitcnt vmcnt(0)
	v_add_f64 v[104:105], v[0:1], v[104:105]
	buffer_load_dword v0, off, s[60:63], 0 offset:40 ; 4-byte Folded Reload
	buffer_load_dword v1, off, s[60:63], 0 offset:44 ; 4-byte Folded Reload
	v_add_f64 v[104:105], v[14:15], v[104:105]
	s_waitcnt vmcnt(0)
	v_add_f64 v[122:123], v[122:123], -v[0:1]
	buffer_load_dword v0, off, s[60:63], 0 offset:112 ; 4-byte Folded Reload
	buffer_load_dword v1, off, s[60:63], 0 offset:116 ; 4-byte Folded Reload
	v_add_f64 v[102:103], v[122:123], v[102:103]
	v_mul_f64 v[122:123], v[174:175], s[16:17]
	v_mul_f64 v[174:175], v[221:222], s[24:25]
	s_waitcnt vmcnt(0)
	v_add_f64 v[138:139], v[138:139], -v[0:1]
	buffer_load_dword v0, off, s[60:63], 0 offset:504 ; 4-byte Folded Reload
	buffer_load_dword v1, off, s[60:63], 0 offset:508 ; 4-byte Folded Reload
	v_add_f64 v[102:103], v[138:139], v[102:103]
	v_mul_f64 v[138:139], v[195:196], s[20:21]
	v_add_f64 v[102:103], v[116:117], v[102:103]
	v_mul_f64 v[116:117], v[207:208], s[2:3]
	s_waitcnt vmcnt(0)
	v_add_f64 v[126:127], v[0:1], v[126:127]
	buffer_load_dword v0, off, s[60:63], 0 offset:104 ; 4-byte Folded Reload
	buffer_load_dword v1, off, s[60:63], 0 offset:108 ; 4-byte Folded Reload
	v_add_f64 v[104:105], v[126:127], v[104:105]
	v_mul_f64 v[126:127], v[193:194], s[20:21]
	s_waitcnt vmcnt(0)
	v_add_f64 v[144:145], v[0:1], v[144:145]
	buffer_load_dword v0, off, s[60:63], 0 offset:168 ; 4-byte Folded Reload
	buffer_load_dword v1, off, s[60:63], 0 offset:172 ; 4-byte Folded Reload
	;; [unrolled: 6-line block ×3, first 2 shown]
	v_add_f64 v[104:105], v[152:153], v[104:105]
	v_mul_f64 v[152:153], v[223:224], s[24:25]
	s_waitcnt vmcnt(0)
	v_add_f64 v[160:161], v[160:161], -v[0:1]
	buffer_load_dword v0, off, s[60:63], 0 offset:216 ; 4-byte Folded Reload
	buffer_load_dword v1, off, s[60:63], 0 offset:220 ; 4-byte Folded Reload
	v_add_f64 v[102:103], v[160:161], v[102:103]
	s_waitcnt vmcnt(0)
	v_add_f64 v[158:159], v[0:1], v[158:159]
	buffer_load_dword v0, off, s[60:63], 0 offset:288 ; 4-byte Folded Reload
	buffer_load_dword v1, off, s[60:63], 0 offset:292 ; 4-byte Folded Reload
	v_add_f64 v[104:105], v[158:159], v[104:105]
	s_waitcnt vmcnt(0)
	v_add_f64 v[164:165], v[0:1], v[164:165]
	;; [unrolled: 5-line block ×3, first 2 shown]
	buffer_load_dword v0, off, s[60:63], 0 offset:304 ; 4-byte Folded Reload
	buffer_load_dword v1, off, s[60:63], 0 offset:308 ; 4-byte Folded Reload
	s_waitcnt vmcnt(0)
	v_add_f64 v[108:109], v[166:167], -v[0:1]
	buffer_load_dword v0, off, s[60:63], 0 offset:376 ; 4-byte Folded Reload
	buffer_load_dword v1, off, s[60:63], 0 offset:380 ; 4-byte Folded Reload
	v_add_f64 v[102:103], v[108:109], v[102:103]
	s_waitcnt vmcnt(0)
	v_add_f64 v[128:129], v[0:1], v[170:171]
	buffer_load_dword v0, off, s[60:63], 0 offset:400 ; 4-byte Folded Reload
	buffer_load_dword v1, off, s[60:63], 0 offset:404 ; 4-byte Folded Reload
	v_add_f64 v[104:105], v[128:129], v[104:105]
	s_waitcnt vmcnt(0)
	v_add_f64 v[60:61], v[180:181], -v[0:1]
	buffer_load_dword v0, off, s[60:63], 0 offset:352 ; 4-byte Folded Reload
	buffer_load_dword v1, off, s[60:63], 0 offset:356 ; 4-byte Folded Reload
	s_waitcnt vmcnt(0)
	v_add_f64 v[100:101], v[172:173], -v[0:1]
	buffer_load_dword v0, off, s[60:63], 0 offset:392 ; 4-byte Folded Reload
	buffer_load_dword v1, off, s[60:63], 0 offset:396 ; 4-byte Folded Reload
	s_waitcnt vmcnt(0)
	v_add_f64 v[108:109], v[0:1], v[178:179]
	buffer_load_dword v0, off, s[60:63], 0 offset:440 ; 4-byte Folded Reload
	buffer_load_dword v1, off, s[60:63], 0 offset:444 ; 4-byte Folded Reload
	v_add_f64 v[18:19], v[108:109], v[104:105]
	s_waitcnt vmcnt(0)
	v_add_f64 v[98:99], v[0:1], v[98:99]
	buffer_load_dword v0, off, s[60:63], 0 offset:432 ; 4-byte Folded Reload
	buffer_load_dword v1, off, s[60:63], 0 offset:436 ; 4-byte Folded Reload
	v_add_f64 v[14:15], v[14:15], v[98:99]
	s_waitcnt vmcnt(0)
	v_add_f64 v[20:21], v[112:113], -v[0:1]
	buffer_load_dword v0, off, s[60:63], 0 offset:448 ; 4-byte Folded Reload
	buffer_load_dword v1, off, s[60:63], 0 offset:452 ; 4-byte Folded Reload
	v_add_f64 v[20:21], v[12:13], v[20:21]
	s_waitcnt vmcnt(0)
	v_add_f64 v[22:23], v[114:115], -v[0:1]
	;; [unrolled: 5-line block ×3, first 2 shown]
	buffer_load_dword v0, off, s[60:63], 0 offset:464 ; 4-byte Folded Reload
	buffer_load_dword v1, off, s[60:63], 0 offset:468 ; 4-byte Folded Reload
	v_add_f64 v[12:13], v[112:113], v[12:13]
	s_waitcnt vmcnt(0)
	v_add_f64 v[114:115], v[0:1], v[134:135]
	buffer_load_dword v0, off, s[60:63], 0 offset:456 ; 4-byte Folded Reload
	buffer_load_dword v1, off, s[60:63], 0 offset:460 ; 4-byte Folded Reload
	v_add_f64 v[14:15], v[114:115], v[14:15]
	s_waitcnt vmcnt(0)
	v_add_f64 v[98:99], v[132:133], -v[0:1]
	buffer_load_dword v0, off, s[60:63], 0 offset:488 ; 4-byte Folded Reload
	buffer_load_dword v1, off, s[60:63], 0 offset:492 ; 4-byte Folded Reload
	v_add_f64 v[20:21], v[98:99], v[20:21]
	s_waitcnt vmcnt(0)
	v_add_f64 v[22:23], v[142:143], -v[0:1]
	buffer_load_dword v0, off, s[60:63], 0 offset:480 ; 4-byte Folded Reload
	buffer_load_dword v1, off, s[60:63], 0 offset:484 ; 4-byte Folded Reload
	v_add_f64 v[12:13], v[22:23], v[12:13]
	s_waitcnt vmcnt(0)
	v_add_f64 v[24:25], v[0:1], v[140:141]
	buffer_load_dword v0, off, s[60:63], 0 offset:424 ; 4-byte Folded Reload
	buffer_load_dword v1, off, s[60:63], 0 offset:428 ; 4-byte Folded Reload
	v_add_f64 v[14:15], v[24:25], v[14:15]
	s_waitcnt vmcnt(0)
	v_add_f64 v[26:27], v[136:137], -v[0:1]
	buffer_load_dword v0, off, s[60:63], 0 offset:96 ; 4-byte Folded Reload
	buffer_load_dword v1, off, s[60:63], 0 offset:100 ; 4-byte Folded Reload
	v_add_f64 v[20:21], v[26:27], v[20:21]
	s_waitcnt vmcnt(0)
	v_add_f64 v[28:29], v[150:151], -v[0:1]
	;; [unrolled: 15-line block ×5, first 2 shown]
	buffer_load_dword v0, off, s[60:63], 0 offset:256 ; 4-byte Folded Reload
	buffer_load_dword v1, off, s[60:63], 0 offset:260 ; 4-byte Folded Reload
	v_add_f64 v[12:13], v[22:23], v[12:13]
	s_waitcnt vmcnt(0)
	v_add_f64 v[30:31], v[0:1], v[168:169]
	buffer_load_dword v0, off, s[60:63], 0 offset:248 ; 4-byte Folded Reload
	buffer_load_dword v1, off, s[60:63], 0 offset:252 ; 4-byte Folded Reload
	v_add_f64 v[26:27], v[30:31], v[14:15]
	v_add_f64 v[14:15], v[84:85], v[110:111]
	;; [unrolled: 1-line block ×3, first 2 shown]
	s_waitcnt vmcnt(0)
	v_add_f64 v[28:29], v[144:145], -v[0:1]
	buffer_load_dword v0, off, s[60:63], 0 offset:360 ; 4-byte Folded Reload
	buffer_load_dword v1, off, s[60:63], 0 offset:364 ; 4-byte Folded Reload
	v_add_f64 v[20:21], v[28:29], v[20:21]
	v_add_f64 v[28:29], v[100:101], v[102:103]
	s_waitcnt vmcnt(0)
	v_add_f64 v[32:33], v[176:177], -v[0:1]
	buffer_load_dword v0, off, s[60:63], 0 offset:344 ; 4-byte Folded Reload
	buffer_load_dword v1, off, s[60:63], 0 offset:348 ; 4-byte Folded Reload
	s_waitcnt vmcnt(0)
	v_add_f64 v[24:25], v[0:1], v[152:153]
	buffer_load_dword v0, off, s[60:63], 0 offset:336 ; 4-byte Folded Reload
	buffer_load_dword v1, off, s[60:63], 0 offset:340 ; 4-byte Folded Reload
	v_add_f64 v[22:23], v[24:25], v[26:27]
	v_add_f64 v[26:27], v[34:35], v[54:55]
	;; [unrolled: 1-line block ×6, first 2 shown]
	s_waitcnt vmcnt(0)
	v_add_f64 v[30:31], v[174:175], -v[0:1]
	v_mul_lo_u16_e32 v0, 17, v184
	v_add_lshl_u32 v0, v182, v0, 4
	v_add_f64 v[20:21], v[30:31], v[20:21]
	ds_write_b128 v0, v[24:27]
	ds_write_b128 v0, v[20:23] offset:16
	ds_write_b128 v0, v[16:19] offset:32
	;; [unrolled: 1-line block ×16, first 2 shown]
.LBB0_7:
	s_or_b64 exec, exec, s[4:5]
	v_add_lshl_u32 v255, v182, v184, 4
	s_waitcnt lgkmcnt(0)
	s_barrier
	ds_read_b128 v[44:47], v255
	ds_read_b128 v[48:51], v255 offset:544
	ds_read_b128 v[76:79], v255 offset:3536
	;; [unrolled: 1-line block ×11, first 2 shown]
	v_cmp_gt_u16_e64 s[0:1], 17, v184
	s_and_saveexec_b64 s[2:3], s[0:1]
	s_cbranch_execz .LBB0_9
; %bb.8:
	ds_read_b128 v[56:59], v255 offset:3264
	ds_read_b128 v[64:67], v255 offset:6800
.LBB0_9:
	s_or_b64 exec, exec, s[2:3]
	s_movk_i32 s2, 0xffef
	v_add_co_u32_e64 v0, s[2:3], s2, v184
	v_addc_co_u32_e64 v1, s[2:3], 0, -1, s[2:3]
	v_cndmask_b32_e64 v98, v1, 0, s[0:1]
	v_cndmask_b32_e64 v97, v0, v184, s[0:1]
	v_lshlrev_b64 v[12:13], 4, v[97:98]
	v_mov_b32_e32 v0, s9
	v_add_co_u32_e64 v12, s[2:3], s8, v12
	v_addc_co_u32_e64 v13, s[2:3], v0, v13, s[2:3]
	v_add_u16_e32 v0, 34, v184
	s_movk_i32 s2, 0xf1
	v_mul_lo_u16_sdwa v1, v0, s2 dst_sel:DWORD dst_unused:UNUSED_PAD src0_sel:BYTE_0 src1_sel:DWORD
	v_lshrrev_b16_e32 v1, 12, v1
	v_mul_lo_u16_e32 v2, 17, v1
	v_sub_u16_e32 v0, v0, v2
	v_mov_b32_e32 v2, 4
	v_lshlrev_b32_sdwa v3, v2, v0 dst_sel:DWORD dst_unused:UNUSED_PAD src0_sel:DWORD src1_sel:BYTE_0
	global_load_dwordx4 v[34:37], v[12:13], off
	global_load_dwordx4 v[30:33], v3, s[8:9]
	v_add_u16_e32 v3, 0x44, v184
	v_mul_lo_u16_sdwa v4, v3, s2 dst_sel:DWORD dst_unused:UNUSED_PAD src0_sel:BYTE_0 src1_sel:DWORD
	v_add_u16_e32 v6, 0x66, v184
	v_lshrrev_b16_e32 v4, 12, v4
	v_mul_lo_u16_sdwa v7, v6, s2 dst_sel:DWORD dst_unused:UNUSED_PAD src0_sel:BYTE_0 src1_sel:DWORD
	v_mul_lo_u16_e32 v5, 17, v4
	v_lshrrev_b16_e32 v7, 12, v7
	v_sub_u16_e32 v3, v3, v5
	v_mul_lo_u16_e32 v8, 17, v7
	v_lshlrev_b32_sdwa v5, v2, v3 dst_sel:DWORD dst_unused:UNUSED_PAD src0_sel:DWORD src1_sel:BYTE_0
	v_sub_u16_e32 v6, v6, v8
	v_lshlrev_b32_sdwa v8, v2, v6 dst_sel:DWORD dst_unused:UNUSED_PAD src0_sel:DWORD src1_sel:BYTE_0
	global_load_dwordx4 v[17:20], v5, s[8:9]
	global_load_dwordx4 v[13:16], v8, s[8:9]
	v_add_u16_e32 v5, 0x88, v184
	v_mul_lo_u16_sdwa v8, v5, s2 dst_sel:DWORD dst_unused:UNUSED_PAD src0_sel:BYTE_0 src1_sel:DWORD
	v_add_u16_e32 v10, 0xaa, v184
	v_lshrrev_b16_e32 v8, 12, v8
	v_mul_lo_u16_sdwa v11, v10, s2 dst_sel:DWORD dst_unused:UNUSED_PAD src0_sel:BYTE_0 src1_sel:DWORD
	v_mul_lo_u16_e32 v9, 17, v8
	v_lshrrev_b16_e32 v11, 12, v11
	v_sub_u16_e32 v5, v5, v9
	v_mul_lo_u16_e32 v12, 17, v11
	v_lshlrev_b32_sdwa v9, v2, v5 dst_sel:DWORD dst_unused:UNUSED_PAD src0_sel:DWORD src1_sel:BYTE_0
	v_sub_u16_e32 v10, v10, v12
	v_lshlrev_b32_sdwa v2, v2, v10 dst_sel:DWORD dst_unused:UNUSED_PAD src0_sel:DWORD src1_sel:BYTE_0
	global_load_dwordx4 v[25:28], v9, s[8:9]
	global_load_dwordx4 v[21:24], v2, s[8:9]
	v_add_u16_e32 v2, 0xcc, v184
	v_mul_lo_u16_sdwa v9, v2, s2 dst_sel:DWORD dst_unused:UNUSED_PAD src0_sel:BYTE_0 src1_sel:DWORD
	v_lshrrev_b16_e32 v9, 12, v9
	v_mul_lo_u16_e32 v9, 17, v9
	v_sub_u16_e32 v163, v2, v9
	v_and_b32_e32 v96, 0xff, v163
	v_lshlrev_b32_e32 v2, 4, v96
	global_load_dwordx4 v[249:252], v2, s[8:9]
	s_load_dwordx4 s[4:7], s[18:19], 0x0
	v_mad_legacy_u16 v0, v1, 34, v0
	v_cmp_lt_u16_e64 s[2:3], 16, v184
	v_and_b32_e32 v0, 0xff, v0
	v_cndmask_b32_e64 v2, 0, 34, s[2:3]
	v_add_lshl_u32 v254, v182, v0, 4
	v_mul_u32_u24_e32 v0, 34, v4
	v_add_u32_e32 v2, v97, v2
	v_add_u32_sdwa v0, v0, v3 dst_sel:DWORD dst_unused:UNUSED_PAD src0_sel:DWORD src1_sel:BYTE_0
	v_add_lshl_u32 v253, v182, v2, 4
	v_add_lshl_u32 v0, v182, v0, 4
	s_waitcnt vmcnt(6) lgkmcnt(0)
	v_mul_f64 v[98:99], v[78:79], v[36:37]
	v_mul_f64 v[100:101], v[76:77], v[36:37]
	s_waitcnt vmcnt(5)
	v_mul_f64 v[102:103], v[74:75], v[32:33]
	v_mul_f64 v[104:105], v[72:73], v[32:33]
	v_fma_f64 v[76:77], v[76:77], v[34:35], -v[98:99]
	v_fma_f64 v[78:79], v[78:79], v[34:35], v[100:101]
	v_fma_f64 v[72:73], v[72:73], v[30:31], -v[102:103]
	v_fma_f64 v[74:75], v[74:75], v[30:31], v[104:105]
	s_waitcnt vmcnt(4)
	v_mul_f64 v[106:107], v[86:87], v[19:20]
	s_waitcnt vmcnt(3)
	v_mul_f64 v[110:111], v[82:83], v[15:16]
	v_mul_f64 v[108:109], v[84:85], v[19:20]
	;; [unrolled: 1-line block ×3, first 2 shown]
	v_add_f64 v[72:73], v[48:49], -v[72:73]
	v_add_f64 v[74:75], v[50:51], -v[74:75]
	v_fma_f64 v[84:85], v[84:85], v[17:18], -v[106:107]
	buffer_store_dword v17, off, s[60:63], 0 offset:40 ; 4-byte Folded Spill
	s_nop 0
	buffer_store_dword v18, off, s[60:63], 0 offset:44 ; 4-byte Folded Spill
	buffer_store_dword v19, off, s[60:63], 0 offset:48 ; 4-byte Folded Spill
	;; [unrolled: 1-line block ×3, first 2 shown]
	v_fma_f64 v[80:81], v[80:81], v[13:14], -v[110:111]
	buffer_store_dword v13, off, s[60:63], 0 offset:24 ; 4-byte Folded Spill
	s_nop 0
	buffer_store_dword v14, off, s[60:63], 0 offset:28 ; 4-byte Folded Spill
	buffer_store_dword v15, off, s[60:63], 0 offset:32 ; 4-byte Folded Spill
	;; [unrolled: 1-line block ×3, first 2 shown]
	s_waitcnt vmcnt(10)
	v_mul_f64 v[114:115], v[94:95], v[27:28]
	s_waitcnt vmcnt(9)
	v_mul_f64 v[118:119], v[90:91], v[23:24]
	v_mul_f64 v[116:117], v[92:93], v[27:28]
	;; [unrolled: 1-line block ×3, first 2 shown]
	v_fma_f64 v[48:49], v[48:49], 2.0, -v[72:73]
	v_add_f64 v[80:81], v[60:61], -v[80:81]
	v_fma_f64 v[50:51], v[50:51], 2.0, -v[74:75]
	v_fma_f64 v[92:93], v[92:93], v[25:26], -v[114:115]
	buffer_store_dword v25, off, s[60:63], 0 offset:72 ; 4-byte Folded Spill
	s_nop 0
	buffer_store_dword v26, off, s[60:63], 0 offset:76 ; 4-byte Folded Spill
	buffer_store_dword v27, off, s[60:63], 0 offset:80 ; 4-byte Folded Spill
	;; [unrolled: 1-line block ×3, first 2 shown]
	v_fma_f64 v[88:89], v[88:89], v[21:22], -v[118:119]
	buffer_store_dword v21, off, s[60:63], 0 offset:56 ; 4-byte Folded Spill
	s_nop 0
	buffer_store_dword v22, off, s[60:63], 0 offset:60 ; 4-byte Folded Spill
	buffer_store_dword v23, off, s[60:63], 0 offset:64 ; 4-byte Folded Spill
	;; [unrolled: 1-line block ×3, first 2 shown]
	s_waitcnt vmcnt(16)
	v_mul_f64 v[122:123], v[66:67], v[251:252]
	v_mul_f64 v[124:125], v[64:65], v[251:252]
	v_fma_f64 v[60:61], v[60:61], 2.0, -v[80:81]
	s_waitcnt vmcnt(0)
	s_barrier
	v_fma_f64 v[98:99], v[64:65], v[249:250], -v[122:123]
	v_fma_f64 v[100:101], v[66:67], v[249:250], v[124:125]
	v_add_f64 v[64:65], v[44:45], -v[76:77]
	v_add_f64 v[66:67], v[46:47], -v[78:79]
	;; [unrolled: 1-line block ×6, first 2 shown]
	v_fma_f64 v[44:45], v[44:45], 2.0, -v[64:65]
	v_fma_f64 v[46:47], v[46:47], 2.0, -v[66:67]
	;; [unrolled: 1-line block ×4, first 2 shown]
	ds_write_b128 v253, v[44:47]
	ds_write_b128 v253, v[64:67] offset:272
	ds_write_b128 v254, v[48:51]
	ds_write_b128 v254, v[72:75] offset:272
	buffer_store_dword v0, off, s[60:63], 0 offset:88 ; 4-byte Folded Spill
	v_fma_f64 v[40:41], v[40:41], 2.0, -v[92:93]
	v_fma_f64 v[86:87], v[86:87], v[17:18], v[108:109]
	v_fma_f64 v[82:83], v[82:83], v[13:14], v[112:113]
	v_add_f64 v[78:79], v[54:55], -v[86:87]
	v_add_f64 v[82:83], v[62:63], -v[82:83]
	v_fma_f64 v[94:95], v[94:95], v[25:26], v[116:117]
	v_fma_f64 v[90:91], v[90:91], v[21:22], v[120:121]
	v_fma_f64 v[54:55], v[54:55], 2.0, -v[78:79]
	ds_write_b128 v0, v[76:79] offset:272
	v_fma_f64 v[62:63], v[62:63], 2.0, -v[82:83]
	v_add_f64 v[86:87], v[70:71], -v[94:95]
	v_add_f64 v[94:95], v[42:43], -v[90:91]
	ds_write_b128 v0, v[52:55]
	v_mul_u32_u24_e32 v0, 34, v7
	v_add_f64 v[90:91], v[58:59], -v[100:101]
	v_add_u32_sdwa v0, v0, v6 dst_sel:DWORD dst_unused:UNUSED_PAD src0_sel:DWORD src1_sel:BYTE_0
	v_add_lshl_u32 v0, v182, v0, 4
	v_fma_f64 v[70:71], v[70:71], 2.0, -v[86:87]
	ds_write_b128 v0, v[60:63]
	v_fma_f64 v[42:43], v[42:43], 2.0, -v[94:95]
	buffer_store_dword v0, off, s[60:63], 0 offset:96 ; 4-byte Folded Spill
	ds_write_b128 v0, v[80:83] offset:272
	v_mul_u32_u24_e32 v0, 34, v8
	v_add_u32_sdwa v0, v0, v5 dst_sel:DWORD dst_unused:UNUSED_PAD src0_sel:DWORD src1_sel:BYTE_0
	v_add_lshl_u32 v0, v182, v0, 4
	ds_write_b128 v0, v[68:71]
	buffer_store_dword v0, off, s[60:63], 0 offset:104 ; 4-byte Folded Spill
	ds_write_b128 v0, v[84:87] offset:272
	v_mul_u32_u24_e32 v0, 34, v11
	v_add_u32_sdwa v0, v0, v10 dst_sel:DWORD dst_unused:UNUSED_PAD src0_sel:DWORD src1_sel:BYTE_0
	v_add_lshl_u32 v0, v182, v0, 4
	ds_write_b128 v0, v[40:43]
	buffer_store_dword v0, off, s[60:63], 0 offset:112 ; 4-byte Folded Spill
	ds_write_b128 v0, v[92:95] offset:272
	s_and_saveexec_b64 s[2:3], s[0:1]
	s_cbranch_execz .LBB0_11
; %bb.10:
	v_fma_f64 v[42:43], v[58:59], 2.0, -v[90:91]
	v_fma_f64 v[40:41], v[56:57], 2.0, -v[88:89]
	v_add_lshl_u32 v0, v182, v96, 4
	ds_write_b128 v0, v[40:43] offset:6528
	ds_write_b128 v0, v[88:91] offset:6800
.LBB0_11:
	s_or_b64 exec, exec, s[2:3]
	v_mov_b32_e32 v41, s9
	s_movk_i32 s2, 0xc0
	v_mov_b32_e32 v40, s8
	v_mad_u64_u32 v[92:93], s[2:3], v184, s2, v[40:41]
	s_waitcnt vmcnt(0) lgkmcnt(0)
	s_barrier
	global_load_dwordx4 v[84:87], v[92:93], off offset:272
	global_load_dwordx4 v[80:83], v[92:93], off offset:288
	;; [unrolled: 1-line block ×12, first 2 shown]
	ds_read_b128 v[104:107], v255
	ds_read_b128 v[92:95], v255 offset:544
	ds_read_b128 v[96:99], v255 offset:1088
	;; [unrolled: 1-line block ×12, first 2 shown]
	s_mov_b32 s28, 0x42a4c3d2
	s_mov_b32 s36, 0x66966769
	;; [unrolled: 1-line block ×30, first 2 shown]
	v_lshl_add_u32 v162, v184, 4, v214
	s_waitcnt vmcnt(11) lgkmcnt(11)
	v_mul_f64 v[144:145], v[94:95], v[86:87]
	s_waitcnt vmcnt(10) lgkmcnt(10)
	v_mul_f64 v[148:149], v[98:99], v[82:83]
	v_mul_f64 v[146:147], v[92:93], v[86:87]
	;; [unrolled: 1-line block ×3, first 2 shown]
	s_waitcnt vmcnt(9) lgkmcnt(9)
	v_mul_f64 v[152:153], v[102:103], v[54:55]
	s_waitcnt vmcnt(6) lgkmcnt(6)
	v_mul_f64 v[166:167], v[118:119], v[58:59]
	v_mul_f64 v[168:169], v[116:117], v[58:59]
	s_waitcnt vmcnt(4) lgkmcnt(4)
	v_mul_f64 v[174:175], v[126:127], v[2:3]
	v_mul_f64 v[176:177], v[124:125], v[2:3]
	v_fma_f64 v[92:93], v[92:93], v[84:85], -v[144:145]
	v_fma_f64 v[144:145], v[96:97], v[80:81], -v[148:149]
	v_mul_f64 v[154:155], v[100:101], v[54:55]
	v_mul_f64 v[170:171], v[122:123], v[50:51]
	v_fma_f64 v[96:97], v[116:117], v[56:57], -v[166:167]
	v_mul_f64 v[172:173], v[120:121], v[50:51]
	v_fma_f64 v[116:117], v[124:125], v[0:1], -v[174:175]
	buffer_store_dword v0, off, s[60:63], 0 offset:120 ; 4-byte Folded Spill
	s_nop 0
	buffer_store_dword v1, off, s[60:63], 0 offset:124 ; 4-byte Folded Spill
	buffer_store_dword v2, off, s[60:63], 0 offset:128 ; 4-byte Folded Spill
	;; [unrolled: 1-line block ×3, first 2 shown]
	s_waitcnt vmcnt(7) lgkmcnt(3)
	v_mul_f64 v[178:179], v[130:131], v[74:75]
	v_mul_f64 v[180:181], v[128:129], v[74:75]
	v_fma_f64 v[94:95], v[94:95], v[84:85], v[146:147]
	v_fma_f64 v[146:147], v[98:99], v[80:81], v[150:151]
	v_fma_f64 v[148:149], v[100:101], v[52:53], -v[152:153]
	v_fma_f64 v[150:151], v[102:103], v[52:53], v[154:155]
	v_fma_f64 v[100:101], v[120:121], v[48:49], -v[170:171]
	;; [unrolled: 2-line block ×3, first 2 shown]
	v_fma_f64 v[122:123], v[130:131], v[72:73], v[180:181]
	v_add_f64 v[128:129], v[104:105], v[92:93]
	v_add_f64 v[130:131], v[106:107], v[94:95]
	v_mul_f64 v[156:157], v[110:111], v[46:47]
	v_mul_f64 v[158:159], v[108:109], v[46:47]
	s_waitcnt vmcnt(4) lgkmcnt(0)
	v_mul_f64 v[191:192], v[142:143], v[70:71]
	v_mul_f64 v[193:194], v[140:141], v[70:71]
	;; [unrolled: 1-line block ×4, first 2 shown]
	v_add_f64 v[128:129], v[128:129], v[144:145]
	v_add_f64 v[130:131], v[130:131], v[146:147]
	v_fma_f64 v[108:109], v[108:109], v[44:45], -v[156:157]
	v_fma_f64 v[110:111], v[110:111], v[44:45], v[158:159]
	v_fma_f64 v[98:99], v[118:119], v[56:57], v[168:169]
	v_fma_f64 v[124:125], v[140:141], v[68:69], -v[191:192]
	v_fma_f64 v[112:113], v[112:113], v[76:77], -v[160:161]
	v_fma_f64 v[114:115], v[114:115], v[76:77], v[164:165]
	v_add_f64 v[128:129], v[128:129], v[148:149]
	v_add_f64 v[130:131], v[130:131], v[150:151]
	v_mul_f64 v[182:183], v[134:135], v[66:67]
	v_mul_f64 v[185:186], v[132:133], v[66:67]
	;; [unrolled: 1-line block ×3, first 2 shown]
	v_add_f64 v[140:141], v[92:93], v[124:125]
	v_add_f64 v[92:93], v[92:93], -v[124:125]
	v_mul_f64 v[189:190], v[136:137], v[62:63]
	v_add_f64 v[128:129], v[128:129], v[108:109]
	v_add_f64 v[130:131], v[130:131], v[110:111]
	v_fma_f64 v[132:133], v[132:133], v[64:65], -v[182:183]
	v_fma_f64 v[134:135], v[134:135], v[64:65], v[185:186]
	v_fma_f64 v[136:137], v[136:137], v[60:61], -v[187:188]
	v_mul_f64 v[158:159], v[92:93], s[20:21]
	v_mul_f64 v[164:165], v[92:93], s[28:29]
	;; [unrolled: 1-line block ×5, first 2 shown]
	v_fma_f64 v[138:139], v[138:139], v[60:61], v[189:190]
	v_add_f64 v[152:153], v[144:145], v[136:137]
	v_add_f64 v[144:145], v[144:145], -v[136:137]
	v_add_f64 v[154:155], v[146:147], v[138:139]
	v_add_f64 v[146:147], v[146:147], -v[138:139]
	v_fma_f64 v[118:119], v[126:127], v[0:1], v[176:177]
	v_fma_f64 v[126:127], v[142:143], v[68:69], v[193:194]
	v_mul_f64 v[176:177], v[92:93], s[24:25]
	v_add_f64 v[92:93], v[128:129], v[112:113]
	v_mul_f64 v[128:129], v[146:147], s[28:29]
	v_add_f64 v[142:143], v[94:95], v[126:127]
	v_add_f64 v[94:95], v[94:95], -v[126:127]
	v_add_f64 v[92:93], v[92:93], v[96:97]
	v_fma_f64 v[185:186], v[142:143], s[16:17], v[158:159]
	v_mul_f64 v[156:157], v[94:95], s[20:21]
	v_mul_f64 v[160:161], v[94:95], s[28:29]
	;; [unrolled: 1-line block ×6, first 2 shown]
	v_add_f64 v[94:95], v[130:131], v[114:115]
	v_add_f64 v[92:93], v[92:93], v[100:101]
	v_fma_f64 v[182:183], v[140:141], s[16:17], -v[156:157]
	v_fma_f64 v[156:157], v[140:141], s[16:17], v[156:157]
	v_fma_f64 v[158:159], v[142:143], s[16:17], -v[158:159]
	v_fma_f64 v[187:188], v[140:141], s[8:9], -v[160:161]
	v_fma_f64 v[189:190], v[142:143], s[8:9], v[164:165]
	v_fma_f64 v[160:161], v[140:141], s[8:9], v[160:161]
	v_add_f64 v[94:95], v[94:95], v[98:99]
	v_add_f64 v[92:93], v[92:93], v[116:117]
	v_fma_f64 v[164:165], v[142:143], s[8:9], -v[164:165]
	v_fma_f64 v[191:192], v[140:141], s[2:3], -v[166:167]
	v_fma_f64 v[193:194], v[142:143], s[2:3], v[168:169]
	v_fma_f64 v[166:167], v[140:141], s[2:3], v[166:167]
	v_fma_f64 v[168:169], v[142:143], s[2:3], -v[168:169]
	v_fma_f64 v[195:196], v[140:141], s[10:11], -v[170:171]
	v_add_f64 v[94:95], v[94:95], v[102:103]
	v_add_f64 v[92:93], v[92:93], v[120:121]
	v_fma_f64 v[197:198], v[142:143], s[10:11], v[172:173]
	v_fma_f64 v[170:171], v[140:141], s[10:11], v[170:171]
	v_fma_f64 v[172:173], v[142:143], s[10:11], -v[172:173]
	v_fma_f64 v[199:200], v[140:141], s[22:23], -v[174:175]
	v_fma_f64 v[201:202], v[142:143], s[22:23], v[176:177]
	v_fma_f64 v[174:175], v[140:141], s[22:23], v[174:175]
	v_add_f64 v[94:95], v[94:95], v[118:119]
	v_add_f64 v[92:93], v[92:93], v[132:133]
	v_fma_f64 v[176:177], v[142:143], s[22:23], -v[176:177]
	v_fma_f64 v[203:204], v[140:141], s[26:27], -v[178:179]
	v_fma_f64 v[205:206], v[142:143], s[26:27], v[180:181]
	v_mul_f64 v[130:131], v[144:145], s[28:29]
	v_add_f64 v[182:183], v[104:105], v[182:183]
	v_add_f64 v[185:186], v[106:107], v[185:186]
	;; [unrolled: 1-line block ×12, first 2 shown]
	v_fma_f64 v[124:125], v[140:141], s[26:27], v[178:179]
	v_add_f64 v[191:192], v[104:105], v[191:192]
	v_add_f64 v[193:194], v[106:107], v[193:194]
	;; [unrolled: 1-line block ×14, first 2 shown]
	v_fma_f64 v[126:127], v[142:143], s[26:27], -v[180:181]
	v_add_f64 v[142:143], v[106:107], v[176:177]
	v_add_f64 v[180:181], v[106:107], v[205:206]
	;; [unrolled: 1-line block ×3, first 2 shown]
	v_mul_f64 v[124:125], v[146:147], s[18:19]
	v_fma_f64 v[174:175], v[152:153], s[8:9], -v[128:129]
	v_fma_f64 v[176:177], v[154:155], s[8:9], v[130:131]
	v_fma_f64 v[128:129], v[152:153], s[8:9], v[128:129]
	v_add_f64 v[106:107], v[106:107], v[126:127]
	v_mul_f64 v[126:127], v[144:145], s[18:19]
	v_fma_f64 v[130:131], v[154:155], s[8:9], -v[130:131]
	s_mov_b32 s21, 0x3fddbe06
	v_fma_f64 v[199:200], v[152:153], s[10:11], -v[124:125]
	v_add_f64 v[174:175], v[174:175], v[182:183]
	v_add_f64 v[176:177], v[176:177], v[185:186]
	v_mul_f64 v[182:183], v[146:147], s[30:31]
	v_mul_f64 v[185:186], v[144:145], s[30:31]
	v_fma_f64 v[201:202], v[154:155], s[10:11], v[126:127]
	v_add_f64 v[128:129], v[128:129], v[156:157]
	v_add_f64 v[130:131], v[130:131], v[158:159]
	v_add_f64 v[156:157], v[199:200], v[187:188]
	v_mul_f64 v[187:188], v[146:147], s[38:39]
	v_fma_f64 v[124:125], v[152:153], s[10:11], v[124:125]
	v_fma_f64 v[126:127], v[154:155], s[10:11], -v[126:127]
	v_fma_f64 v[203:204], v[152:153], s[26:27], -v[182:183]
	v_add_f64 v[158:159], v[201:202], v[189:190]
	v_mul_f64 v[189:190], v[144:145], s[38:39]
	v_fma_f64 v[205:206], v[154:155], s[26:27], v[185:186]
	v_fma_f64 v[182:183], v[152:153], s[26:27], v[182:183]
	v_fma_f64 v[199:200], v[152:153], s[22:23], -v[187:188]
	v_fma_f64 v[187:188], v[152:153], s[22:23], v[187:188]
	v_add_f64 v[124:125], v[124:125], v[160:161]
	v_add_f64 v[126:127], v[126:127], v[164:165]
	;; [unrolled: 1-line block ×3, first 2 shown]
	v_fma_f64 v[201:202], v[154:155], s[22:23], v[189:190]
	v_fma_f64 v[189:190], v[154:155], s[22:23], -v[189:190]
	v_add_f64 v[164:165], v[205:206], v[193:194]
	v_mul_f64 v[191:192], v[146:147], s[34:35]
	v_mul_f64 v[193:194], v[144:145], s[34:35]
	v_add_f64 v[170:171], v[187:188], v[170:171]
	v_add_f64 v[187:188], v[150:151], -v[134:135]
	v_fma_f64 v[185:186], v[154:155], s[26:27], -v[185:186]
	v_add_f64 v[166:167], v[182:183], v[166:167]
	v_add_f64 v[172:173], v[189:190], v[172:173]
	v_add_f64 v[189:190], v[148:149], -v[132:133]
	v_fma_f64 v[203:204], v[152:153], s[2:3], -v[191:192]
	v_fma_f64 v[182:183], v[154:155], s[2:3], v[193:194]
	v_mul_f64 v[146:147], v[146:147], s[20:21]
	v_mul_f64 v[144:145], v[144:145], s[20:21]
	v_add_f64 v[132:133], v[148:149], v[132:133]
	v_add_f64 v[134:135], v[150:151], v[134:135]
	v_mul_f64 v[148:149], v[187:188], s[36:37]
	v_mul_f64 v[150:151], v[189:190], s[36:37]
	v_add_f64 v[168:169], v[185:186], v[168:169]
	v_add_f64 v[185:186], v[203:204], v[195:196]
	;; [unrolled: 1-line block ×3, first 2 shown]
	v_fma_f64 v[191:192], v[152:153], s[2:3], v[191:192]
	v_fma_f64 v[193:194], v[154:155], s[2:3], -v[193:194]
	v_fma_f64 v[195:196], v[152:153], s[16:17], -v[146:147]
	v_fma_f64 v[197:198], v[154:155], s[16:17], v[144:145]
	v_fma_f64 v[146:147], v[152:153], s[16:17], v[146:147]
	v_fma_f64 v[144:145], v[154:155], s[16:17], -v[144:145]
	v_fma_f64 v[152:153], v[132:133], s[2:3], -v[148:149]
	v_fma_f64 v[154:155], v[134:135], s[2:3], v[150:151]
	v_fma_f64 v[148:149], v[132:133], s[2:3], v[148:149]
	v_fma_f64 v[150:151], v[134:135], s[2:3], -v[150:151]
	v_add_f64 v[140:141], v[191:192], v[140:141]
	v_add_f64 v[142:143], v[193:194], v[142:143]
	;; [unrolled: 1-line block ×6, first 2 shown]
	v_mul_f64 v[152:153], v[187:188], s[30:31]
	v_mul_f64 v[154:155], v[189:190], s[30:31]
	;; [unrolled: 1-line block ×4, first 2 shown]
	v_add_f64 v[128:129], v[148:149], v[128:129]
	v_add_f64 v[130:131], v[150:151], v[130:131]
	v_add_f64 v[178:179], v[195:196], v[178:179]
	v_add_f64 v[180:181], v[197:198], v[180:181]
	v_fma_f64 v[191:192], v[132:133], s[26:27], -v[152:153]
	v_fma_f64 v[193:194], v[134:135], s[26:27], v[154:155]
	v_fma_f64 v[152:153], v[132:133], s[26:27], v[152:153]
	v_fma_f64 v[154:155], v[134:135], s[26:27], -v[154:155]
	v_fma_f64 v[148:149], v[132:133], s[10:11], -v[174:175]
	v_fma_f64 v[150:151], v[134:135], s[10:11], v[176:177]
	v_add_f64 v[136:137], v[199:200], v[136:137]
	v_add_f64 v[138:139], v[201:202], v[138:139]
	v_add_f64 v[156:157], v[191:192], v[156:157]
	v_add_f64 v[158:159], v[193:194], v[158:159]
	v_add_f64 v[124:125], v[152:153], v[124:125]
	v_add_f64 v[126:127], v[154:155], v[126:127]
	v_mul_f64 v[152:153], v[187:188], s[20:21]
	v_mul_f64 v[154:155], v[189:190], s[20:21]
	v_add_f64 v[148:149], v[148:149], v[160:161]
	v_add_f64 v[150:151], v[150:151], v[164:165]
	v_fma_f64 v[160:161], v[132:133], s[10:11], v[174:175]
	v_fma_f64 v[164:165], v[134:135], s[10:11], -v[176:177]
	v_mul_f64 v[174:175], v[187:188], s[28:29]
	v_mul_f64 v[176:177], v[189:190], s[28:29]
	v_fma_f64 v[191:192], v[132:133], s[16:17], -v[152:153]
	v_fma_f64 v[193:194], v[134:135], s[16:17], v[154:155]
	v_fma_f64 v[152:153], v[132:133], s[16:17], v[152:153]
	v_fma_f64 v[154:155], v[134:135], s[16:17], -v[154:155]
	v_add_f64 v[160:161], v[160:161], v[166:167]
	v_add_f64 v[164:165], v[164:165], v[168:169]
	v_fma_f64 v[166:167], v[132:133], s[8:9], -v[174:175]
	v_fma_f64 v[168:169], v[134:135], s[8:9], v[176:177]
	v_fma_f64 v[174:175], v[132:133], s[8:9], v[174:175]
	v_fma_f64 v[176:177], v[134:135], s[8:9], -v[176:177]
	v_add_f64 v[152:153], v[152:153], v[170:171]
	v_add_f64 v[154:155], v[154:155], v[172:173]
	v_mul_f64 v[170:171], v[187:188], s[24:25]
	v_mul_f64 v[172:173], v[189:190], s[24:25]
	v_add_f64 v[166:167], v[166:167], v[185:186]
	v_add_f64 v[168:169], v[168:169], v[182:183]
	v_add_f64 v[182:183], v[110:111], -v[122:123]
	v_add_f64 v[185:186], v[108:109], -v[120:121]
	v_add_f64 v[108:109], v[108:109], v[120:121]
	v_add_f64 v[110:111], v[110:111], v[122:123]
	v_fma_f64 v[187:188], v[132:133], s[22:23], -v[170:171]
	v_fma_f64 v[189:190], v[134:135], s[22:23], v[172:173]
	v_fma_f64 v[132:133], v[132:133], s[22:23], v[170:171]
	v_fma_f64 v[134:135], v[134:135], s[22:23], -v[172:173]
	v_mul_f64 v[120:121], v[182:183], s[18:19]
	v_mul_f64 v[122:123], v[185:186], s[18:19]
	v_add_f64 v[140:141], v[174:175], v[140:141]
	v_add_f64 v[142:143], v[176:177], v[142:143]
	;; [unrolled: 1-line block ×6, first 2 shown]
	v_fma_f64 v[174:175], v[108:109], s[10:11], -v[120:121]
	v_fma_f64 v[176:177], v[110:111], s[10:11], v[122:123]
	v_mul_f64 v[132:133], v[182:183], s[38:39]
	v_mul_f64 v[134:135], v[185:186], s[38:39]
	v_fma_f64 v[120:121], v[108:109], s[10:11], v[120:121]
	v_fma_f64 v[122:123], v[110:111], s[10:11], -v[122:123]
	s_mov_b32 s39, 0x3fcea1e5
	s_mov_b32 s38, s30
	v_add_f64 v[144:145], v[174:175], v[144:145]
	v_add_f64 v[146:147], v[176:177], v[146:147]
	v_mul_f64 v[174:175], v[182:183], s[20:21]
	v_mul_f64 v[176:177], v[185:186], s[20:21]
	v_fma_f64 v[178:179], v[108:109], s[22:23], -v[132:133]
	v_fma_f64 v[180:181], v[110:111], s[22:23], v[134:135]
	v_add_f64 v[120:121], v[120:121], v[128:129]
	v_add_f64 v[122:123], v[122:123], v[130:131]
	v_fma_f64 v[128:129], v[108:109], s[22:23], v[132:133]
	v_fma_f64 v[130:131], v[110:111], s[22:23], -v[134:135]
	v_fma_f64 v[132:133], v[108:109], s[16:17], -v[174:175]
	v_fma_f64 v[134:135], v[110:111], s[16:17], v[176:177]
	v_add_f64 v[156:157], v[178:179], v[156:157]
	v_add_f64 v[158:159], v[180:181], v[158:159]
	v_mul_f64 v[178:179], v[182:183], s[36:37]
	v_mul_f64 v[180:181], v[185:186], s[36:37]
	v_add_f64 v[136:137], v[191:192], v[136:137]
	v_add_f64 v[138:139], v[193:194], v[138:139]
	;; [unrolled: 1-line block ×6, first 2 shown]
	v_fma_f64 v[132:133], v[108:109], s[16:17], v[174:175]
	v_fma_f64 v[134:135], v[110:111], s[16:17], -v[176:177]
	v_fma_f64 v[148:149], v[108:109], s[2:3], -v[178:179]
	v_fma_f64 v[150:151], v[110:111], s[2:3], v[180:181]
	v_mul_f64 v[174:175], v[182:183], s[38:39]
	v_mul_f64 v[176:177], v[185:186], s[38:39]
	s_mov_b32 s37, 0x3fea55e2
	s_mov_b32 s36, s28
	v_fma_f64 v[178:179], v[108:109], s[2:3], v[178:179]
	v_fma_f64 v[180:181], v[110:111], s[2:3], -v[180:181]
	v_add_f64 v[136:137], v[148:149], v[136:137]
	v_add_f64 v[138:139], v[150:151], v[138:139]
	v_fma_f64 v[148:149], v[108:109], s[26:27], -v[174:175]
	v_fma_f64 v[150:151], v[110:111], s[26:27], v[176:177]
	v_add_f64 v[132:133], v[132:133], v[160:161]
	v_add_f64 v[134:135], v[134:135], v[164:165]
	v_mul_f64 v[160:161], v[182:183], s[36:37]
	v_mul_f64 v[164:165], v[185:186], s[36:37]
	v_add_f64 v[152:153], v[178:179], v[152:153]
	v_add_f64 v[154:155], v[180:181], v[154:155]
	;; [unrolled: 1-line block ×4, first 2 shown]
	v_add_f64 v[166:167], v[114:115], -v[118:119]
	v_add_f64 v[168:169], v[112:113], -v[116:117]
	v_fma_f64 v[174:175], v[108:109], s[26:27], v[174:175]
	v_fma_f64 v[176:177], v[110:111], s[26:27], -v[176:177]
	v_fma_f64 v[178:179], v[108:109], s[8:9], -v[160:161]
	v_fma_f64 v[180:181], v[110:111], s[8:9], v[164:165]
	v_add_f64 v[112:113], v[112:113], v[116:117]
	v_add_f64 v[114:115], v[114:115], v[118:119]
	v_mul_f64 v[116:117], v[166:167], s[24:25]
	v_mul_f64 v[118:119], v[168:169], s[24:25]
	v_fma_f64 v[108:109], v[108:109], s[8:9], v[160:161]
	v_fma_f64 v[110:111], v[110:111], s[8:9], -v[164:165]
	v_add_f64 v[160:161], v[178:179], v[170:171]
	v_add_f64 v[164:165], v[180:181], v[172:173]
	;; [unrolled: 1-line block ×4, first 2 shown]
	v_fma_f64 v[170:171], v[112:113], s[22:23], -v[116:117]
	v_fma_f64 v[172:173], v[114:115], s[22:23], v[118:119]
	v_add_f64 v[104:105], v[108:109], v[104:105]
	v_add_f64 v[106:107], v[110:111], v[106:107]
	v_mul_f64 v[108:109], v[166:167], s[34:35]
	v_mul_f64 v[110:111], v[168:169], s[34:35]
	v_fma_f64 v[116:117], v[112:113], s[22:23], v[116:117]
	v_fma_f64 v[118:119], v[114:115], s[22:23], -v[118:119]
	v_add_f64 v[144:145], v[170:171], v[144:145]
	v_add_f64 v[146:147], v[172:173], v[146:147]
	v_mul_f64 v[170:171], v[166:167], s[28:29]
	v_mul_f64 v[172:173], v[168:169], s[28:29]
	v_fma_f64 v[174:175], v[112:113], s[2:3], -v[108:109]
	v_fma_f64 v[176:177], v[114:115], s[2:3], v[110:111]
	v_fma_f64 v[108:109], v[112:113], s[2:3], v[108:109]
	v_fma_f64 v[110:111], v[114:115], s[2:3], -v[110:111]
	v_add_f64 v[116:117], v[116:117], v[120:121]
	v_add_f64 v[118:119], v[118:119], v[122:123]
	v_fma_f64 v[120:121], v[112:113], s[8:9], -v[170:171]
	v_fma_f64 v[122:123], v[114:115], s[8:9], v[172:173]
	v_add_f64 v[156:157], v[174:175], v[156:157]
	v_add_f64 v[158:159], v[176:177], v[158:159]
	v_mul_f64 v[174:175], v[166:167], s[38:39]
	v_mul_f64 v[176:177], v[168:169], s[38:39]
	v_add_f64 v[108:109], v[108:109], v[124:125]
	v_add_f64 v[110:111], v[110:111], v[126:127]
	v_fma_f64 v[124:125], v[112:113], s[8:9], v[170:171]
	v_fma_f64 v[126:127], v[114:115], s[8:9], -v[172:173]
	v_mul_f64 v[170:171], v[166:167], s[20:21]
	v_mul_f64 v[172:173], v[168:169], s[20:21]
	v_add_f64 v[120:121], v[120:121], v[128:129]
	v_add_f64 v[122:123], v[122:123], v[130:131]
	v_fma_f64 v[128:129], v[112:113], s[26:27], -v[174:175]
	v_fma_f64 v[130:131], v[114:115], s[26:27], v[176:177]
	v_fma_f64 v[174:175], v[112:113], s[26:27], v[174:175]
	v_fma_f64 v[176:177], v[114:115], s[26:27], -v[176:177]
	v_add_f64 v[124:125], v[124:125], v[132:133]
	v_add_f64 v[126:127], v[126:127], v[134:135]
	v_fma_f64 v[132:133], v[112:113], s[16:17], -v[170:171]
	v_fma_f64 v[134:135], v[114:115], s[16:17], v[172:173]
	v_add_f64 v[128:129], v[128:129], v[136:137]
	v_add_f64 v[130:131], v[130:131], v[138:139]
	;; [unrolled: 1-line block ×4, first 2 shown]
	v_fma_f64 v[152:153], v[112:113], s[16:17], v[170:171]
	v_fma_f64 v[154:155], v[114:115], s[16:17], -v[172:173]
	v_mul_f64 v[166:167], v[166:167], s[18:19]
	v_mul_f64 v[168:169], v[168:169], s[18:19]
	v_add_f64 v[132:133], v[132:133], v[148:149]
	v_add_f64 v[134:135], v[134:135], v[150:151]
	v_add_f64 v[148:149], v[98:99], -v[102:103]
	v_add_f64 v[150:151], v[96:97], -v[100:101]
	v_add_f64 v[140:141], v[152:153], v[140:141]
	v_add_f64 v[142:143], v[154:155], v[142:143]
	v_fma_f64 v[152:153], v[112:113], s[10:11], -v[166:167]
	v_fma_f64 v[154:155], v[114:115], s[10:11], v[168:169]
	v_add_f64 v[170:171], v[96:97], v[100:101]
	v_add_f64 v[172:173], v[98:99], v[102:103]
	v_mul_f64 v[96:97], v[148:149], s[30:31]
	v_mul_f64 v[98:99], v[150:151], s[30:31]
	v_fma_f64 v[100:101], v[112:113], s[10:11], v[166:167]
	v_fma_f64 v[102:103], v[114:115], s[10:11], -v[168:169]
	v_add_f64 v[152:153], v[152:153], v[160:161]
	v_add_f64 v[154:155], v[154:155], v[164:165]
	v_mul_f64 v[112:113], v[148:149], s[20:21]
	v_mul_f64 v[114:115], v[150:151], s[20:21]
	v_fma_f64 v[160:161], v[170:171], s[26:27], -v[96:97]
	v_fma_f64 v[164:165], v[172:173], s[26:27], v[98:99]
	v_add_f64 v[166:167], v[100:101], v[104:105]
	v_add_f64 v[168:169], v[102:103], v[106:107]
	v_fma_f64 v[100:101], v[170:171], s[26:27], v[96:97]
	v_fma_f64 v[102:103], v[172:173], s[26:27], -v[98:99]
	v_fma_f64 v[174:175], v[170:171], s[16:17], -v[112:113]
	v_fma_f64 v[176:177], v[172:173], s[16:17], v[114:115]
	v_add_f64 v[96:97], v[160:161], v[144:145]
	v_add_f64 v[98:99], v[164:165], v[146:147]
	v_mul_f64 v[144:145], v[148:149], s[24:25]
	v_mul_f64 v[146:147], v[150:151], s[24:25]
	v_add_f64 v[104:105], v[100:101], v[116:117]
	v_add_f64 v[106:107], v[102:103], v[118:119]
	;; [unrolled: 1-line block ×4, first 2 shown]
	v_fma_f64 v[112:113], v[170:171], s[16:17], v[112:113]
	v_fma_f64 v[114:115], v[172:173], s[16:17], -v[114:115]
	v_fma_f64 v[116:117], v[170:171], s[22:23], -v[144:145]
	v_fma_f64 v[118:119], v[172:173], s[22:23], v[146:147]
	v_mul_f64 v[156:157], v[148:149], s[36:37]
	v_mul_f64 v[158:159], v[150:151], s[36:37]
	v_fma_f64 v[144:145], v[170:171], s[22:23], v[144:145]
	v_fma_f64 v[146:147], v[172:173], s[22:23], -v[146:147]
	v_add_f64 v[112:113], v[112:113], v[108:109]
	v_add_f64 v[114:115], v[114:115], v[110:111]
	;; [unrolled: 1-line block ×4, first 2 shown]
	v_fma_f64 v[120:121], v[170:171], s[8:9], -v[156:157]
	v_fma_f64 v[122:123], v[172:173], s[8:9], v[158:159]
	v_add_f64 v[116:117], v[144:145], v[124:125]
	v_add_f64 v[118:119], v[146:147], v[126:127]
	v_fma_f64 v[124:125], v[170:171], s[8:9], v[156:157]
	v_fma_f64 v[126:127], v[172:173], s[8:9], -v[158:159]
	v_mul_f64 v[144:145], v[148:149], s[18:19]
	v_mul_f64 v[146:147], v[150:151], s[18:19]
	v_add_f64 v[120:121], v[120:121], v[128:129]
	v_add_f64 v[122:123], v[122:123], v[130:131]
	v_mul_f64 v[128:129], v[148:149], s[34:35]
	v_mul_f64 v[130:131], v[150:151], s[34:35]
	v_add_f64 v[124:125], v[124:125], v[136:137]
	v_add_f64 v[126:127], v[126:127], v[138:139]
	v_fma_f64 v[136:137], v[170:171], s[10:11], -v[144:145]
	v_fma_f64 v[138:139], v[172:173], s[10:11], v[146:147]
	v_fma_f64 v[144:145], v[170:171], s[10:11], v[144:145]
	v_fma_f64 v[146:147], v[172:173], s[10:11], -v[146:147]
	v_fma_f64 v[148:149], v[170:171], s[2:3], -v[128:129]
	v_fma_f64 v[150:151], v[172:173], s[2:3], v[130:131]
	v_fma_f64 v[156:157], v[170:171], s[2:3], v[128:129]
	v_fma_f64 v[158:159], v[172:173], s[2:3], -v[130:131]
	v_add_f64 v[128:129], v[136:137], v[132:133]
	v_add_f64 v[130:131], v[138:139], v[134:135]
	;; [unrolled: 1-line block ×8, first 2 shown]
	ds_write_b128 v162, v[92:95]
	ds_write_b128 v162, v[96:99] offset:544
	ds_write_b128 v162, v[100:103] offset:1088
	;; [unrolled: 1-line block ×12, first 2 shown]
	s_waitcnt vmcnt(0) lgkmcnt(0)
	s_barrier
	s_and_saveexec_b64 s[8:9], vcc
	s_cbranch_execz .LBB0_13
; %bb.12:
	s_add_u32 s10, s12, 0x1ba0
	s_addc_u32 s11, s13, 0
	global_load_dwordx4 v[148:151], v213, s[10:11]
	ds_read_b128 v[144:147], v162
	v_add_co_u32_e64 v0, s[2:3], s10, v213
	v_mov_b32_e32 v1, s11
	v_addc_co_u32_e64 v1, s[2:3], 0, v1, s[2:3]
	s_movk_i32 s2, 0x1000
	v_add_co_u32_e64 v156, s[2:3], s2, v0
	v_addc_co_u32_e64 v157, s[2:3], 0, v1, s[2:3]
	v_or_b32_e32 v0, 0x1a00, v213
	s_waitcnt vmcnt(0) lgkmcnt(0)
	v_mul_f64 v[152:153], v[146:147], v[150:151]
	v_fma_f64 v[152:153], v[144:145], v[148:149], -v[152:153]
	v_mul_f64 v[144:145], v[144:145], v[150:151]
	v_fma_f64 v[154:155], v[146:147], v[148:149], v[144:145]
	global_load_dwordx4 v[148:151], v213, s[10:11] offset:416
	ds_read_b128 v[144:147], v162 offset:416
	ds_write_b128 v162, v[152:155]
	s_waitcnt vmcnt(0) lgkmcnt(1)
	v_mul_f64 v[152:153], v[146:147], v[150:151]
	v_fma_f64 v[152:153], v[144:145], v[148:149], -v[152:153]
	v_mul_f64 v[144:145], v[144:145], v[150:151]
	v_fma_f64 v[154:155], v[146:147], v[148:149], v[144:145]
	global_load_dwordx4 v[148:151], v213, s[10:11] offset:832
	ds_read_b128 v[144:147], v162 offset:832
	ds_write_b128 v162, v[152:155] offset:416
	s_waitcnt vmcnt(0) lgkmcnt(1)
	v_mul_f64 v[152:153], v[146:147], v[150:151]
	v_fma_f64 v[152:153], v[144:145], v[148:149], -v[152:153]
	v_mul_f64 v[144:145], v[144:145], v[150:151]
	v_fma_f64 v[154:155], v[146:147], v[148:149], v[144:145]
	global_load_dwordx4 v[148:151], v213, s[10:11] offset:1248
	ds_read_b128 v[144:147], v162 offset:1248
	ds_write_b128 v162, v[152:155] offset:832
	;; [unrolled: 8-line block ×8, first 2 shown]
	s_waitcnt vmcnt(0) lgkmcnt(1)
	v_mul_f64 v[152:153], v[146:147], v[150:151]
	v_fma_f64 v[152:153], v[144:145], v[148:149], -v[152:153]
	v_mul_f64 v[144:145], v[144:145], v[150:151]
	v_fma_f64 v[154:155], v[146:147], v[148:149], v[144:145]
	global_load_dwordx4 v[148:151], v[156:157], off offset:64
	ds_read_b128 v[144:147], v162 offset:4160
	ds_write_b128 v162, v[152:155] offset:3744
	s_waitcnt vmcnt(0) lgkmcnt(1)
	v_mul_f64 v[152:153], v[146:147], v[150:151]
	v_fma_f64 v[152:153], v[144:145], v[148:149], -v[152:153]
	v_mul_f64 v[144:145], v[144:145], v[150:151]
	v_fma_f64 v[154:155], v[146:147], v[148:149], v[144:145]
	global_load_dwordx4 v[148:151], v[156:157], off offset:480
	ds_read_b128 v[144:147], v162 offset:4576
	ds_write_b128 v162, v[152:155] offset:4160
	;; [unrolled: 8-line block ×6, first 2 shown]
	s_waitcnt vmcnt(0) lgkmcnt(1)
	v_mul_f64 v[152:153], v[146:147], v[150:151]
	v_fma_f64 v[152:153], v[144:145], v[148:149], -v[152:153]
	v_mul_f64 v[144:145], v[144:145], v[150:151]
	v_fma_f64 v[154:155], v[146:147], v[148:149], v[144:145]
	global_load_dwordx4 v[148:151], v0, s[10:11]
	ds_read_b128 v[144:147], v162 offset:6656
	ds_write_b128 v162, v[152:155] offset:6240
	s_waitcnt vmcnt(0) lgkmcnt(1)
	v_mul_f64 v[152:153], v[146:147], v[150:151]
	v_fma_f64 v[152:153], v[144:145], v[148:149], -v[152:153]
	v_mul_f64 v[144:145], v[144:145], v[150:151]
	v_fma_f64 v[154:155], v[146:147], v[148:149], v[144:145]
	ds_write_b128 v162, v[152:155] offset:6656
.LBB0_13:
	s_or_b64 exec, exec, s[8:9]
	s_waitcnt lgkmcnt(0)
	s_barrier
	s_and_saveexec_b64 s[2:3], vcc
	s_cbranch_execz .LBB0_15
; %bb.14:
	ds_read_b128 v[92:95], v162
	ds_read_b128 v[96:99], v162 offset:416
	ds_read_b128 v[100:103], v162 offset:832
	;; [unrolled: 1-line block ×16, first 2 shown]
.LBB0_15:
	s_or_b64 exec, exec, s[2:3]
	s_waitcnt lgkmcnt(0)
	v_add_f64 v[187:188], v[98:99], v[219:220]
	s_mov_b32 s2, 0x3259b75e
	s_mov_b32 s3, 0x3fb79ee6
	v_add_f64 v[201:202], v[96:97], -v[217:218]
	v_add_f64 v[0:1], v[98:99], -v[219:220]
	s_mov_b32 s10, 0xeb564b22
	s_mov_b32 s11, 0xbfefdd0d
	v_add_f64 v[185:186], v[96:97], v[217:218]
	v_mul_f64 v[2:3], v[187:188], s[2:3]
	s_mov_b32 s22, 0xacd6c6b4
	s_mov_b32 s23, 0xbfc7851a
	v_add_f64 v[191:192], v[100:101], v[227:228]
	v_mul_f64 v[20:21], v[0:1], s[10:11]
	v_add_f64 v[193:194], v[102:103], v[229:230]
	s_mov_b32 s18, 0x923c349f
	s_mov_b32 s16, 0x7faef3
	buffer_store_dword v2, off, s[60:63], 0 offset:208 ; 4-byte Folded Spill
	s_nop 0
	buffer_store_dword v3, off, s[60:63], 0 offset:212 ; 4-byte Folded Spill
	s_mov_b32 s19, 0xbfeec746
	s_mov_b32 s17, 0xbfef7484
	v_mul_f64 v[42:43], v[0:1], s[18:19]
	v_fma_f64 v[144:145], v[185:186], s[2:3], -v[20:21]
	v_add_f64 v[211:212], v[100:101], -v[227:228]
	v_mul_f64 v[40:41], v[193:194], s[16:17]
	s_mov_b32 s8, 0xc61f0d01
	s_mov_b32 s34, 0x4363dd80
	;; [unrolled: 1-line block ×4, first 2 shown]
	v_mul_f64 v[203:204], v[187:188], s[8:9]
	v_add_f64 v[144:145], v[92:93], v[144:145]
	v_fma_f64 v[148:149], v[185:186], s[8:9], -v[42:43]
	s_mov_b32 s20, 0x910ea3b9
	s_mov_b32 s21, 0xbfeb34fa
	v_mul_f64 v[166:167], v[193:194], s[20:21]
	v_add_f64 v[8:9], v[110:111], -v[243:244]
	s_mov_b32 s42, s18
	v_fma_f64 v[150:151], v[201:202], s[18:19], v[203:204]
	v_add_f64 v[197:198], v[108:109], v[241:242]
	v_add_f64 v[148:149], v[92:93], v[148:149]
	;; [unrolled: 1-line block ×3, first 2 shown]
	v_mov_b32_e32 v4, v217
	v_mov_b32_e32 v5, v218
	v_mul_f64 v[24:25], v[8:9], s[42:43]
	v_mov_b32_e32 v6, v219
	v_add_f64 v[150:151], v[94:95], v[150:151]
	v_mov_b32_e32 v7, v220
	v_add_f64 v[217:218], v[130:131], v[106:107]
	v_add_f64 v[207:208], v[108:109], -v[241:242]
	v_mul_f64 v[195:196], v[199:200], s[8:9]
	s_mov_b32 s50, 0x2a9d6da3
	s_mov_b32 s51, 0x3fe58eea
	v_mul_f64 v[164:165], v[8:9], s[50:51]
	s_mov_b32 s24, 0x75d4884
	s_mov_b32 s25, 0x3fe7a5f6
	v_mul_f64 v[16:17], v[217:218], s[16:17]
	buffer_store_dword v16, off, s[60:63], 0 offset:152 ; 4-byte Folded Spill
	s_nop 0
	buffer_store_dword v17, off, s[60:63], 0 offset:156 ; 4-byte Folded Spill
	v_mul_f64 v[174:175], v[199:200], s[24:25]
	v_add_f64 v[14:15], v[122:123], -v[90:91]
	s_mov_b32 s44, 0x5d8e7cdc
	s_mov_b32 s45, 0x3fd71e95
	v_add_f64 v[205:206], v[120:121], v[88:89]
	v_add_f64 v[209:210], v[122:123], v[90:91]
	s_mov_b32 s26, 0x370991
	s_mov_b32 s27, 0x3fedd6d0
	v_add_f64 v[219:220], v[120:121], -v[88:89]
	v_mul_f64 v[38:39], v[14:15], s[44:45]
	s_mov_b32 s30, 0x7c9e640b
	s_mov_b32 s31, 0xbfeca52d
	v_mul_f64 v[170:171], v[14:15], s[30:31]
	v_mul_f64 v[26:27], v[209:210], s[26:27]
	s_mov_b32 s28, 0x2b2883cd
	s_mov_b32 s29, 0x3fdc86fa
	v_mul_f64 v[180:181], v[209:210], s[28:29]
	v_add_f64 v[225:226], v[130:131], -v[106:107]
	v_add_f64 v[215:216], v[128:129], v[104:105]
	v_mov_b32_e32 v10, v227
	v_mov_b32_e32 v11, v228
	;; [unrolled: 1-line block ×4, first 2 shown]
	v_add_f64 v[227:228], v[128:129], -v[104:105]
	v_mul_f64 v[172:173], v[217:218], s[28:29]
	v_mul_f64 v[154:155], v[225:226], s[30:31]
	;; [unrolled: 1-line block ×3, first 2 shown]
	v_add_f64 v[223:224], v[134:135], v[114:115]
	v_add_f64 v[235:236], v[142:143], v[118:119]
	s_mov_b32 s40, 0x6ed5f1bb
	s_mov_b32 s41, 0xbfe348c8
	v_add_f64 v[231:232], v[134:135], -v[114:115]
	s_mov_b32 s39, 0xbfe0d888
	v_fma_f64 v[146:147], v[201:202], s[10:11], v[2:3]
	v_add_f64 v[2:3], v[102:103], -v[229:230]
	s_mov_b32 s38, s34
	v_mul_f64 v[160:161], v[235:236], s[40:41]
	v_add_f64 v[221:222], v[132:133], v[112:113]
	v_add_f64 v[233:234], v[132:133], -v[112:113]
	v_mul_f64 v[158:159], v[231:232], s[38:39]
	v_mul_f64 v[176:177], v[223:224], s[20:21]
	v_add_f64 v[146:147], v[94:95], v[146:147]
	v_mul_f64 v[22:23], v[2:3], s[22:23]
	v_mul_f64 v[189:190], v[2:3], s[34:35]
	s_mov_b32 s56, s10
	v_mul_f64 v[182:183], v[231:232], s[56:57]
	s_mov_b32 s54, 0x6c9a05f6
	s_mov_b32 s55, 0x3fe9895b
	v_add_f64 v[229:230], v[140:141], v[116:117]
	s_mov_b32 s47, 0xbfd71e95
	v_fma_f64 v[152:153], v[191:192], s[16:17], -v[22:23]
	s_mov_b32 s46, s44
	v_add_f64 v[239:240], v[138:139], v[126:127]
	v_add_f64 v[247:248], v[138:139], -v[126:127]
	v_add_f64 v[237:238], v[136:137], v[124:125]
	v_add_f64 v[245:246], v[136:137], -v[124:125]
	s_mov_b32 s49, 0xbfe9895b
	s_mov_b32 s48, s54
	v_add_f64 v[144:145], v[152:153], v[144:145]
	v_fma_f64 v[152:153], v[211:212], s[22:23], v[40:41]
	v_mul_f64 v[168:169], v[239:240], s[24:25]
	v_mul_f64 v[28:29], v[239:240], s[40:41]
	v_add_f64 v[146:147], v[152:153], v[146:147]
	v_fma_f64 v[152:153], v[191:192], s[20:21], -v[189:190]
	v_add_f64 v[148:149], v[152:153], v[148:149]
	v_fma_f64 v[152:153], v[211:212], s[34:35], v[166:167]
	v_add_f64 v[150:151], v[152:153], v[150:151]
	v_fma_f64 v[152:153], v[197:198], s[8:9], -v[24:25]
	v_add_f64 v[144:145], v[152:153], v[144:145]
	v_fma_f64 v[152:153], v[207:208], s[42:43], v[195:196]
	;; [unrolled: 4-line block ×7, first 2 shown]
	v_mul_f64 v[16:17], v[223:224], s[2:3]
	buffer_store_dword v16, off, s[60:63], 0 offset:192 ; 4-byte Folded Spill
	s_nop 0
	buffer_store_dword v17, off, s[60:63], 0 offset:196 ; 4-byte Folded Spill
	buffer_store_dword v160, off, s[60:63], 0 offset:136 ; 4-byte Folded Spill
	s_nop 0
	buffer_store_dword v161, off, s[60:63], 0 offset:140 ; 4-byte Folded Spill
	v_add_f64 v[150:151], v[152:153], v[150:151]
	v_fma_f64 v[152:153], v[221:222], s[20:21], -v[158:159]
	v_add_f64 v[144:145], v[152:153], v[144:145]
	v_fma_f64 v[152:153], v[233:234], s[38:39], v[176:177]
	v_add_f64 v[146:147], v[152:153], v[146:147]
	v_fma_f64 v[152:153], v[221:222], s[2:3], -v[182:183]
	v_add_f64 v[148:149], v[152:153], v[148:149]
	v_fma_f64 v[152:153], v[233:234], s[56:57], v[16:17]
	v_mov_b32_e32 v16, v241
	v_mov_b32_e32 v17, v242
	;; [unrolled: 1-line block ×4, first 2 shown]
	v_add_f64 v[241:242], v[142:143], -v[118:119]
	v_add_f64 v[243:244], v[140:141], -v[116:117]
	v_add_f64 v[150:151], v[152:153], v[150:151]
	v_mul_f64 v[152:153], v[241:242], s[54:55]
	v_fma_f64 v[156:157], v[229:230], s[40:41], -v[152:153]
	v_add_f64 v[144:145], v[156:157], v[144:145]
	v_fma_f64 v[156:157], v[243:244], s[54:55], v[160:161]
	v_mul_f64 v[160:161], v[235:236], s[26:27]
	v_add_f64 v[146:147], v[156:157], v[146:147]
	v_mul_f64 v[156:157], v[241:242], s[46:47]
	buffer_store_dword v156, off, s[60:63], 0 offset:176 ; 4-byte Folded Spill
	s_nop 0
	buffer_store_dword v157, off, s[60:63], 0 offset:180 ; 4-byte Folded Spill
	buffer_store_dword v160, off, s[60:63], 0 offset:184 ; 4-byte Folded Spill
	s_nop 0
	buffer_store_dword v161, off, s[60:63], 0 offset:188 ; 4-byte Folded Spill
	buffer_store_dword v168, off, s[60:63], 0 offset:168 ; 4-byte Folded Spill
	s_nop 0
	buffer_store_dword v169, off, s[60:63], 0 offset:172 ; 4-byte Folded Spill
	buffer_store_dword v28, off, s[60:63], 0 offset:200 ; 4-byte Folded Spill
	s_nop 0
	buffer_store_dword v29, off, s[60:63], 0 offset:204 ; 4-byte Folded Spill
	s_waitcnt vmcnt(0)
	s_barrier
	v_fma_f64 v[156:157], v[229:230], s[26:27], -v[156:157]
	v_add_f64 v[148:149], v[156:157], v[148:149]
	v_fma_f64 v[156:157], v[243:244], s[46:47], v[160:161]
	v_add_f64 v[150:151], v[156:157], v[150:151]
	v_mul_f64 v[156:157], v[247:248], s[50:51]
	v_fma_f64 v[160:161], v[237:238], s[24:25], -v[156:157]
	v_add_f64 v[144:145], v[160:161], v[144:145]
	v_fma_f64 v[160:161], v[245:246], s[50:51], v[168:169]
	v_add_f64 v[146:147], v[160:161], v[146:147]
	v_mul_f64 v[160:161], v[247:248], s[48:49]
	v_fma_f64 v[168:169], v[237:238], s[40:41], -v[160:161]
	v_add_f64 v[148:149], v[168:169], v[148:149]
	v_fma_f64 v[168:169], v[245:246], s[48:49], v[28:29]
	v_add_f64 v[150:151], v[168:169], v[150:151]
	s_and_saveexec_b64 s[36:37], vcc
	s_cbranch_execz .LBB0_17
; %bb.16:
	v_mul_f64 v[168:169], v[201:202], s[22:23]
	buffer_store_dword v170, off, s[60:63], 0 offset:408 ; 4-byte Folded Spill
	s_nop 0
	buffer_store_dword v171, off, s[60:63], 0 offset:412 ; 4-byte Folded Spill
	buffer_store_dword v176, off, s[60:63], 0 offset:376 ; 4-byte Folded Spill
	s_nop 0
	buffer_store_dword v177, off, s[60:63], 0 offset:380 ; 4-byte Folded Spill
	;; [unrolled: 3-line block ×5, first 2 shown]
	v_mul_f64 v[180:181], v[0:1], s[22:23]
	v_mul_f64 v[174:175], v[211:212], s[44:45]
	v_fma_f64 v[178:179], v[187:188], s[16:17], v[168:169]
	buffer_store_dword v182, off, s[60:63], 0 offset:400 ; 4-byte Folded Spill
	s_nop 0
	buffer_store_dword v183, off, s[60:63], 0 offset:404 ; 4-byte Folded Spill
	buffer_store_dword v249, off, s[60:63], 0 offset:224 ; 4-byte Folded Spill
	s_nop 0
	buffer_store_dword v250, off, s[60:63], 0 offset:228 ; 4-byte Folded Spill
	buffer_store_dword v251, off, s[60:63], 0 offset:232 ; 4-byte Folded Spill
	;; [unrolled: 1-line block ×4, first 2 shown]
	s_nop 0
	buffer_store_dword v153, off, s[60:63], 0 offset:500 ; 4-byte Folded Spill
	buffer_store_dword v253, off, s[60:63], 0 offset:240 ; 4-byte Folded Spill
	buffer_store_dword v254, off, s[60:63], 0 offset:248 ; 4-byte Folded Spill
	buffer_store_dword v154, off, s[60:63], 0 offset:344 ; 4-byte Folded Spill
	s_nop 0
	buffer_store_dword v155, off, s[60:63], 0 offset:348 ; 4-byte Folded Spill
	v_mul_f64 v[251:252], v[207:208], s[38:39]
	v_mul_f64 v[152:153], v[2:3], s[44:45]
	v_fma_f64 v[253:254], v[185:186], s[16:17], -v[180:181]
	v_fma_f64 v[154:155], v[193:194], s[26:27], v[174:175]
	v_add_f64 v[178:179], v[94:95], v[178:179]
	buffer_store_dword v156, off, s[60:63], 0 offset:352 ; 4-byte Folded Spill
	s_nop 0
	buffer_store_dword v157, off, s[60:63], 0 offset:356 ; 4-byte Folded Spill
	buffer_store_dword v158, off, s[60:63], 0 offset:336 ; 4-byte Folded Spill
	s_nop 0
	buffer_store_dword v159, off, s[60:63], 0 offset:340 ; 4-byte Folded Spill
	;; [unrolled: 3-line block ×4, first 2 shown]
	buffer_store_dword v163, off, s[60:63], 0 offset:216 ; 4-byte Folded Spill
	buffer_store_dword v164, off, s[60:63], 0 offset:440 ; 4-byte Folded Spill
	s_nop 0
	buffer_store_dword v165, off, s[60:63], 0 offset:444 ; 4-byte Folded Spill
	buffer_store_dword v166, off, s[60:63], 0 offset:488 ; 4-byte Folded Spill
	s_nop 0
	buffer_store_dword v167, off, s[60:63], 0 offset:492 ; 4-byte Folded Spill
	v_mul_f64 v[249:250], v[219:220], s[50:51]
	v_mul_f64 v[160:161], v[8:9], s[38:39]
	v_fma_f64 v[163:164], v[191:192], s[26:27], -v[152:153]
	v_add_f64 v[253:254], v[92:93], v[253:254]
	v_fma_f64 v[165:166], v[199:200], s[20:21], v[251:252]
	v_add_f64 v[154:155], v[154:155], v[178:179]
	buffer_store_dword v10, off, s[60:63], 0 offset:256 ; 4-byte Folded Spill
	s_nop 0
	buffer_store_dword v11, off, s[60:63], 0 offset:260 ; 4-byte Folded Spill
	buffer_store_dword v12, off, s[60:63], 0 offset:264 ; 4-byte Folded Spill
	buffer_store_dword v13, off, s[60:63], 0 offset:268 ; 4-byte Folded Spill
	buffer_store_dword v38, off, s[60:63], 0 offset:384 ; 4-byte Folded Spill
	s_nop 0
	buffer_store_dword v39, off, s[60:63], 0 offset:388 ; 4-byte Folded Spill
	buffer_store_dword v26, off, s[60:63], 0 offset:448 ; 4-byte Folded Spill
	s_nop 0
	buffer_store_dword v27, off, s[60:63], 0 offset:452 ; 4-byte Folded Spill
	buffer_store_dword v24, off, s[60:63], 0 offset:424 ; 4-byte Folded Spill
	s_nop 0
	buffer_store_dword v25, off, s[60:63], 0 offset:428 ; 4-byte Folded Spill
	v_mov_b32_e32 v27, v1
	v_mov_b32_e32 v25, v3
	v_mul_f64 v[182:183], v[227:228], s[48:49]
	v_mul_f64 v[178:179], v[14:15], s[50:51]
	v_fma_f64 v[167:168], v[187:188], s[16:17], -v[168:169]
	v_mov_b32_e32 v26, v0
	v_fma_f64 v[0:1], v[197:198], s[20:21], -v[160:161]
	v_mov_b32_e32 v24, v2
	v_add_f64 v[2:3], v[163:164], v[253:254]
	v_fma_f64 v[163:164], v[209:210], s[24:25], v[249:250]
	v_add_f64 v[154:155], v[165:166], v[154:155]
	s_mov_b32 s53, 0x3feca52d
	s_mov_b32 s52, s30
	buffer_store_dword v4, off, s[60:63], 0 offset:8 ; 4-byte Folded Spill
	s_nop 0
	buffer_store_dword v5, off, s[60:63], 0 offset:12 ; 4-byte Folded Spill
	buffer_store_dword v6, off, s[60:63], 0 offset:16 ; 4-byte Folded Spill
	buffer_store_dword v7, off, s[60:63], 0 offset:20 ; 4-byte Folded Spill
	v_mul_f64 v[172:173], v[225:226], s[48:49]
	v_mul_f64 v[253:254], v[233:234], s[52:53]
	v_fma_f64 v[174:175], v[193:194], s[26:27], -v[174:175]
	v_add_f64 v[167:168], v[94:95], v[167:168]
	v_fma_f64 v[4:5], v[205:206], s[24:25], -v[178:179]
	v_add_f64 v[0:1], v[0:1], v[2:3]
	v_fma_f64 v[2:3], v[217:218], s[40:41], v[182:183]
	v_add_f64 v[6:7], v[163:164], v[154:155]
	v_mul_f64 v[176:177], v[243:244], s[18:19]
	v_mul_f64 v[154:155], v[231:232], s[52:53]
	v_fma_f64 v[163:164], v[199:200], s[20:21], -v[251:252]
	v_fma_f64 v[180:181], v[185:186], s[16:17], v[180:181]
	v_add_f64 v[167:168], v[174:175], v[167:168]
	v_add_f64 v[0:1], v[4:5], v[0:1]
	v_fma_f64 v[4:5], v[215:216], s[40:41], -v[172:173]
	v_add_f64 v[2:3], v[2:3], v[6:7]
	v_fma_f64 v[6:7], v[223:224], s[28:29], v[253:254]
	v_mul_f64 v[170:171], v[245:246], s[56:57]
	v_mul_f64 v[158:159], v[241:242], s[18:19]
	v_fma_f64 v[152:153], v[191:192], s[26:27], v[152:153]
	v_add_f64 v[180:181], v[92:93], v[180:181]
	v_add_f64 v[163:164], v[163:164], v[167:168]
	v_fma_f64 v[249:250], v[209:210], s[24:25], -v[249:250]
	v_add_f64 v[0:1], v[4:5], v[0:1]
	v_fma_f64 v[4:5], v[221:222], s[28:29], -v[154:155]
	v_add_f64 v[2:3], v[6:7], v[2:3]
	v_fma_f64 v[6:7], v[235:236], s[8:9], v[176:177]
	v_mul_f64 v[165:166], v[201:202], s[38:39]
	v_mul_f64 v[156:157], v[247:248], s[56:57]
	v_add_f64 v[152:153], v[152:153], v[180:181]
	v_add_f64 v[163:164], v[249:250], v[163:164]
	v_fma_f64 v[249:250], v[239:240], s[2:3], v[170:171]
	v_add_f64 v[0:1], v[4:5], v[0:1]
	v_fma_f64 v[4:5], v[229:230], s[8:9], -v[158:159]
	v_add_f64 v[2:3], v[6:7], v[2:3]
	v_fma_f64 v[160:161], v[197:198], s[20:21], v[160:161]
	v_mul_f64 v[174:175], v[211:212], s[52:53]
	v_fma_f64 v[167:168], v[187:188], s[20:21], v[165:166]
	buffer_store_dword v22, off, s[60:63], 0 offset:472 ; 4-byte Folded Spill
	s_nop 0
	buffer_store_dword v23, off, s[60:63], 0 offset:476 ; 4-byte Folded Spill
	v_mov_b32_e32 v39, v15
	v_fma_f64 v[6:7], v[237:238], s[2:3], -v[156:157]
	v_add_f64 v[0:1], v[4:5], v[0:1]
	v_add_f64 v[22:23], v[249:250], v[2:3]
	v_fma_f64 v[2:3], v[205:206], s[24:25], v[178:179]
	v_add_f64 v[4:5], v[160:161], v[152:153]
	v_mov_b32_e32 v38, v14
	v_mul_f64 v[14:15], v[207:208], s[10:11]
	v_fma_f64 v[180:181], v[193:194], s[28:29], v[174:175]
	v_add_f64 v[167:168], v[94:95], v[167:168]
	buffer_store_dword v20, off, s[60:63], 0 offset:480 ; 4-byte Folded Spill
	s_nop 0
	buffer_store_dword v21, off, s[60:63], 0 offset:484 ; 4-byte Folded Spill
	v_add_f64 v[20:21], v[6:7], v[0:1]
	v_fma_f64 v[6:7], v[215:216], s[40:41], v[172:173]
	v_add_f64 v[2:3], v[2:3], v[4:5]
	v_mul_f64 v[12:13], v[219:220], s[54:55]
	v_fma_f64 v[182:183], v[217:218], s[40:41], -v[182:183]
	v_fma_f64 v[154:155], v[221:222], s[28:29], v[154:155]
	v_add_f64 v[167:168], v[180:181], v[167:168]
	v_fma_f64 v[180:181], v[199:200], s[2:3], v[14:15]
	v_fma_f64 v[251:252], v[223:224], s[28:29], -v[253:254]
	v_mul_f64 v[160:161], v[227:228], s[46:47]
	v_add_f64 v[2:3], v[6:7], v[2:3]
	v_fma_f64 v[158:159], v[229:230], s[8:9], v[158:159]
	v_add_f64 v[152:153], v[182:183], v[163:164]
	v_fma_f64 v[163:164], v[209:210], s[40:41], v[12:13]
	v_fma_f64 v[0:1], v[235:236], s[8:9], -v[176:177]
	v_add_f64 v[167:168], v[180:181], v[167:168]
	buffer_store_dword v20, off, s[60:63], 0 offset:272 ; 4-byte Folded Spill
	s_nop 0
	buffer_store_dword v21, off, s[60:63], 0 offset:276 ; 4-byte Folded Spill
	buffer_store_dword v22, off, s[60:63], 0 offset:280 ; 4-byte Folded Spill
	;; [unrolled: 1-line block ×3, first 2 shown]
	v_fma_f64 v[172:173], v[217:218], s[26:27], v[160:161]
	v_add_f64 v[2:3], v[154:155], v[2:3]
	v_fma_f64 v[154:155], v[237:238], s[2:3], v[156:157]
	v_add_f64 v[4:5], v[251:252], v[152:153]
	v_mul_f64 v[152:153], v[233:234], s[22:23]
	v_mul_f64 v[156:157], v[245:246], s[18:19]
	v_add_f64 v[163:164], v[163:164], v[167:168]
	v_fma_f64 v[167:168], v[239:240], s[2:3], -v[170:171]
	v_mul_f64 v[169:170], v[26:27], s[38:39]
	v_add_f64 v[2:3], v[158:159], v[2:3]
	v_fma_f64 v[158:159], v[187:188], s[20:21], -v[165:166]
	v_add_f64 v[0:1], v[0:1], v[4:5]
	v_mul_f64 v[4:5], v[243:244], s[50:51]
	v_fma_f64 v[6:7], v[223:224], s[16:17], v[152:153]
	v_add_f64 v[163:164], v[172:173], v[163:164]
	v_mul_f64 v[171:172], v[24:25], s[52:53]
	v_fma_f64 v[176:177], v[185:186], s[20:21], -v[169:170]
	v_add_f64 v[20:21], v[154:155], v[2:3]
	v_fma_f64 v[2:3], v[185:186], s[20:21], v[169:170]
	v_add_f64 v[22:23], v[167:168], v[0:1]
	v_fma_f64 v[178:179], v[235:236], s[24:25], v[4:5]
	v_fma_f64 v[154:155], v[193:194], s[28:29], -v[174:175]
	v_add_f64 v[6:7], v[6:7], v[163:164]
	v_mul_f64 v[163:164], v[8:9], s[10:11]
	v_fma_f64 v[180:181], v[191:192], s[28:29], -v[171:172]
	v_add_f64 v[176:177], v[92:93], v[176:177]
	v_add_f64 v[158:159], v[94:95], v[158:159]
	v_fma_f64 v[169:170], v[191:192], s[28:29], v[171:172]
	v_add_f64 v[2:3], v[92:93], v[2:3]
	v_fma_f64 v[0:1], v[239:240], s[8:9], v[156:157]
	v_add_f64 v[6:7], v[178:179], v[6:7]
	v_mul_f64 v[165:166], v[38:39], s[54:55]
	v_fma_f64 v[167:168], v[197:198], s[2:3], -v[163:164]
	v_add_f64 v[176:177], v[180:181], v[176:177]
	buffer_store_dword v20, off, s[60:63], 0 offset:288 ; 4-byte Folded Spill
	s_nop 0
	buffer_store_dword v21, off, s[60:63], 0 offset:292 ; 4-byte Folded Spill
	buffer_store_dword v22, off, s[60:63], 0 offset:296 ; 4-byte Folded Spill
	;; [unrolled: 1-line block ×3, first 2 shown]
	v_fma_f64 v[14:15], v[199:200], s[2:3], -v[14:15]
	v_add_f64 v[154:155], v[154:155], v[158:159]
	v_fma_f64 v[163:164], v[197:198], s[2:3], v[163:164]
	v_add_f64 v[2:3], v[169:170], v[2:3]
	v_add_f64 v[22:23], v[0:1], v[6:7]
	v_mul_f64 v[0:1], v[225:226], s[46:47]
	v_fma_f64 v[6:7], v[205:206], s[40:41], -v[165:166]
	v_add_f64 v[167:168], v[167:168], v[176:177]
	v_fma_f64 v[12:13], v[209:210], s[40:41], -v[12:13]
	v_add_f64 v[14:15], v[14:15], v[154:155]
	v_fma_f64 v[165:166], v[205:206], s[40:41], v[165:166]
	v_add_f64 v[2:3], v[163:164], v[2:3]
	v_mul_f64 v[171:172], v[231:232], s[22:23]
	v_fma_f64 v[173:174], v[215:216], s[26:27], -v[0:1]
	v_mul_f64 v[175:176], v[201:202], s[48:49]
	v_add_f64 v[6:7], v[6:7], v[167:168]
	v_fma_f64 v[160:161], v[217:218], s[26:27], -v[160:161]
	v_add_f64 v[12:13], v[12:13], v[14:15]
	v_fma_f64 v[0:1], v[215:216], s[26:27], v[0:1]
	v_add_f64 v[2:3], v[165:166], v[2:3]
	v_fma_f64 v[167:168], v[221:222], s[16:17], -v[171:172]
	v_mul_f64 v[163:164], v[211:212], s[42:43]
	v_fma_f64 v[169:170], v[187:188], s[40:41], v[175:176]
	v_add_f64 v[6:7], v[173:174], v[6:7]
	v_mul_f64 v[14:15], v[241:242], s[50:51]
	v_fma_f64 v[152:153], v[223:224], s[16:17], -v[152:153]
	v_add_f64 v[12:13], v[160:161], v[12:13]
	v_fma_f64 v[171:172], v[221:222], s[16:17], v[171:172]
	v_add_f64 v[0:1], v[0:1], v[2:3]
	v_mul_f64 v[160:161], v[207:208], s[46:47]
	v_fma_f64 v[165:166], v[193:194], s[8:9], v[163:164]
	v_add_f64 v[6:7], v[167:168], v[6:7]
	v_add_f64 v[167:168], v[94:95], v[169:170]
	v_mul_f64 v[158:159], v[247:248], s[18:19]
	v_fma_f64 v[169:170], v[229:230], s[24:25], -v[14:15]
	v_fma_f64 v[2:3], v[235:236], s[24:25], -v[4:5]
	v_add_f64 v[4:5], v[152:153], v[12:13]
	v_fma_f64 v[14:15], v[229:230], s[24:25], v[14:15]
	v_add_f64 v[0:1], v[171:172], v[0:1]
	v_mul_f64 v[12:13], v[219:220], s[38:39]
	v_fma_f64 v[152:153], v[199:200], s[26:27], v[160:161]
	v_add_f64 v[165:166], v[165:166], v[167:168]
	v_fma_f64 v[154:155], v[237:238], s[8:9], -v[158:159]
	v_add_f64 v[6:7], v[169:170], v[6:7]
	v_fma_f64 v[156:157], v[239:240], s[8:9], -v[156:157]
	v_add_f64 v[2:3], v[2:3], v[4:5]
	v_fma_f64 v[158:159], v[237:238], s[8:9], v[158:159]
	v_add_f64 v[0:1], v[14:15], v[0:1]
	v_mul_f64 v[4:5], v[227:228], s[56:57]
	v_fma_f64 v[167:168], v[209:210], s[20:21], v[12:13]
	v_add_f64 v[152:153], v[152:153], v[165:166]
	v_mul_f64 v[165:166], v[26:27], s[48:49]
	s_mov_b32 s59, 0xbfe58eea
	s_mov_b32 s58, s50
	v_add_f64 v[20:21], v[154:155], v[6:7]
	v_add_f64 v[2:3], v[156:157], v[2:3]
	;; [unrolled: 1-line block ×3, first 2 shown]
	v_mul_f64 v[14:15], v[233:234], s[58:59]
	v_fma_f64 v[169:170], v[217:218], s[2:3], v[4:5]
	v_add_f64 v[152:153], v[167:168], v[152:153]
	v_mul_f64 v[172:173], v[24:25], s[42:43]
	v_fma_f64 v[167:168], v[185:186], s[40:41], -v[165:166]
	buffer_store_dword v20, off, s[60:63], 0 offset:304 ; 4-byte Folded Spill
	s_nop 0
	buffer_store_dword v21, off, s[60:63], 0 offset:308 ; 4-byte Folded Spill
	buffer_store_dword v22, off, s[60:63], 0 offset:312 ; 4-byte Folded Spill
	;; [unrolled: 1-line block ×4, first 2 shown]
	s_nop 0
	buffer_store_dword v1, off, s[60:63], 0 offset:324 ; 4-byte Folded Spill
	buffer_store_dword v2, off, s[60:63], 0 offset:328 ; 4-byte Folded Spill
	;; [unrolled: 1-line block ×3, first 2 shown]
	v_mul_f64 v[0:1], v[243:244], s[22:23]
	v_fma_f64 v[2:3], v[223:224], s[24:25], v[14:15]
	v_add_f64 v[6:7], v[169:170], v[152:153]
	v_fma_f64 v[152:153], v[191:192], s[8:9], -v[172:173]
	v_add_f64 v[154:155], v[92:93], v[167:168]
	v_mul_f64 v[156:157], v[8:9], s[46:47]
	v_mul_f64 v[177:178], v[241:242], s[22:23]
	v_mul_f64 v[179:180], v[245:246], s[52:53]
	v_fma_f64 v[158:159], v[235:236], s[16:17], v[0:1]
	v_fma_f64 v[163:164], v[193:194], s[8:9], -v[163:164]
	v_add_f64 v[2:3], v[2:3], v[6:7]
	v_mul_f64 v[6:7], v[38:39], s[38:39]
	v_add_f64 v[152:153], v[152:153], v[154:155]
	v_fma_f64 v[154:155], v[197:198], s[26:27], -v[156:157]
	v_fma_f64 v[160:161], v[199:200], s[26:27], -v[160:161]
	;; [unrolled: 1-line block ×5, first 2 shown]
	v_add_f64 v[2:3], v[158:159], v[2:3]
	v_fma_f64 v[158:159], v[205:206], s[20:21], -v[6:7]
	v_fma_f64 v[156:157], v[197:198], s[26:27], v[156:157]
	v_add_f64 v[152:153], v[154:155], v[152:153]
	v_mul_f64 v[154:155], v[225:226], s[56:57]
	v_fma_f64 v[6:7], v[205:206], s[20:21], v[6:7]
	v_mul_f64 v[249:250], v[197:198], s[24:25]
	v_mul_f64 v[253:254], v[219:220], s[44:45]
	v_mov_b32_e32 v29, v9
	v_mov_b32_e32 v28, v8
	v_mul_f64 v[8:9], v[227:228], s[30:31]
	v_add_f64 v[152:153], v[158:159], v[152:153]
	v_fma_f64 v[158:159], v[215:216], s[2:3], -v[154:155]
	v_fma_f64 v[154:155], v[215:216], s[2:3], v[154:155]
	v_fma_f64 v[0:1], v[235:236], s[16:17], -v[0:1]
	v_mul_f64 v[181:182], v[197:198], s[8:9]
	v_mul_f64 v[251:252], v[205:206], s[26:27]
	v_add_f64 v[152:153], v[158:159], v[152:153]
	v_mul_f64 v[158:159], v[231:232], s[58:59]
	v_fma_f64 v[167:168], v[221:222], s[24:25], -v[158:159]
	v_fma_f64 v[158:159], v[221:222], s[24:25], v[158:159]
	v_add_f64 v[152:153], v[167:168], v[152:153]
	v_fma_f64 v[167:168], v[229:230], s[16:17], -v[177:178]
	v_add_f64 v[152:153], v[167:168], v[152:153]
	v_fma_f64 v[167:168], v[239:240], s[28:29], v[179:180]
	v_fma_f64 v[179:180], v[239:240], s[28:29], -v[179:180]
	v_add_f64 v[22:23], v[167:168], v[2:3]
	v_mul_f64 v[2:3], v[247:248], s[52:53]
	v_fma_f64 v[167:168], v[237:238], s[28:29], -v[2:3]
	v_fma_f64 v[2:3], v[237:238], s[28:29], v[2:3]
	v_add_f64 v[20:21], v[167:168], v[152:153]
	buffer_store_dword v20, off, s[60:63], 0 offset:360 ; 4-byte Folded Spill
	s_nop 0
	buffer_store_dword v21, off, s[60:63], 0 offset:364 ; 4-byte Folded Spill
	buffer_store_dword v22, off, s[60:63], 0 offset:368 ; 4-byte Folded Spill
	;; [unrolled: 1-line block ×3, first 2 shown]
	buffer_load_dword v10, off, s[60:63], 0 offset:488 ; 4-byte Folded Reload
	buffer_load_dword v11, off, s[60:63], 0 offset:492 ; 4-byte Folded Reload
	v_fma_f64 v[152:153], v[187:188], s[40:41], -v[175:176]
	v_mul_f64 v[174:175], v[191:192], s[20:21]
	v_mov_b32_e32 v171, v19
	v_mov_b32_e32 v170, v18
	;; [unrolled: 1-line block ×4, first 2 shown]
	v_mul_f64 v[18:19], v[245:246], s[48:49]
	v_mov_b32_e32 v20, v184
	v_add_f64 v[152:153], v[94:95], v[152:153]
	v_add_f64 v[174:175], v[174:175], v[189:190]
	v_mul_f64 v[183:184], v[215:216], s[28:29]
	v_mul_f64 v[189:190], v[233:234], s[38:39]
	v_add_f64 v[152:153], v[163:164], v[152:153]
	v_mul_f64 v[163:164], v[201:202], s[10:11]
	v_add_f64 v[152:153], v[160:161], v[152:153]
	v_fma_f64 v[160:161], v[191:192], s[8:9], v[172:173]
	v_mul_f64 v[172:173], v[211:212], s[22:23]
	v_add_f64 v[12:13], v[12:13], v[152:153]
	v_fma_f64 v[152:153], v[185:186], s[40:41], v[165:166]
	v_mul_f64 v[165:166], v[185:186], s[8:9]
	v_add_f64 v[172:173], v[40:41], -v[172:173]
	v_add_f64 v[4:5], v[4:5], v[12:13]
	v_mul_f64 v[12:13], v[211:212], s[34:35]
	v_add_f64 v[152:153], v[92:93], v[152:153]
	v_add_f64 v[165:166], v[165:166], v[42:43]
	;; [unrolled: 1-line block ×3, first 2 shown]
	v_mul_f64 v[14:15], v[207:208], s[50:51]
	v_add_f64 v[152:153], v[160:161], v[152:153]
	v_mul_f64 v[160:161], v[201:202], s[18:19]
	v_add_f64 v[165:166], v[92:93], v[165:166]
	v_add_f64 v[0:1], v[0:1], v[4:5]
	v_mul_f64 v[4:5], v[191:192], s[16:17]
	v_add_f64 v[152:153], v[156:157], v[152:153]
	v_add_f64 v[160:161], v[203:204], -v[160:161]
	v_mul_f64 v[203:204], v[243:244], s[46:47]
	v_mul_f64 v[156:157], v[185:186], s[2:3]
	v_add_f64 v[42:43], v[179:180], v[0:1]
	v_fma_f64 v[0:1], v[229:230], s[16:17], v[177:178]
	v_add_f64 v[6:7], v[6:7], v[152:153]
	v_mul_f64 v[152:153], v[219:220], s[30:31]
	v_add_f64 v[160:161], v[94:95], v[160:161]
	v_add_f64 v[6:7], v[154:155], v[6:7]
	v_mul_f64 v[154:155], v[227:228], s[22:23]
	s_waitcnt vmcnt(0)
	v_add_f64 v[12:13], v[10:11], -v[12:13]
	buffer_load_dword v10, off, s[60:63], 0 offset:464 ; 4-byte Folded Reload
	buffer_load_dword v11, off, s[60:63], 0 offset:468 ; 4-byte Folded Reload
	v_add_f64 v[6:7], v[158:159], v[6:7]
	v_add_f64 v[12:13], v[12:13], v[160:161]
	v_mul_f64 v[160:161], v[233:234], s[56:57]
	v_add_f64 v[0:1], v[0:1], v[6:7]
	v_add_f64 v[40:41], v[2:3], v[0:1]
	v_mul_f64 v[2:3], v[201:202], s[30:31]
	s_waitcnt vmcnt(0)
	v_add_f64 v[14:15], v[10:11], -v[14:15]
	buffer_load_dword v10, off, s[60:63], 0 offset:456 ; 4-byte Folded Reload
	buffer_load_dword v11, off, s[60:63], 0 offset:460 ; 4-byte Folded Reload
	v_add_f64 v[12:13], v[14:15], v[12:13]
	v_mul_f64 v[14:15], v[207:208], s[42:43]
	v_add_f64 v[14:15], v[195:196], -v[14:15]
	v_mul_f64 v[195:196], v[243:244], s[54:55]
	s_mov_b32 s55, 0x3fc7851a
	s_mov_b32 s54, s22
	s_waitcnt vmcnt(0)
	v_add_f64 v[152:153], v[10:11], -v[152:153]
	buffer_load_dword v10, off, s[60:63], 0 offset:192 ; 4-byte Folded Reload
	buffer_load_dword v11, off, s[60:63], 0 offset:196 ; 4-byte Folded Reload
	v_add_f64 v[12:13], v[152:153], v[12:13]
	v_mul_f64 v[152:153], v[205:206], s[28:29]
	s_waitcnt vmcnt(0)
	v_add_f64 v[160:161], v[10:11], -v[160:161]
	buffer_load_dword v10, off, s[60:63], 0 offset:152 ; 4-byte Folded Reload
	buffer_load_dword v11, off, s[60:63], 0 offset:156 ; 4-byte Folded Reload
	s_waitcnt vmcnt(0)
	v_add_f64 v[154:155], v[10:11], -v[154:155]
	buffer_load_dword v10, off, s[60:63], 0 offset:208 ; 4-byte Folded Reload
	buffer_load_dword v11, off, s[60:63], 0 offset:212 ; 4-byte Folded Reload
	v_add_f64 v[12:13], v[154:155], v[12:13]
	v_mul_f64 v[154:155], v[221:222], s[20:21]
	v_add_f64 v[12:13], v[160:161], v[12:13]
	s_waitcnt vmcnt(0)
	v_add_f64 v[163:164], v[10:11], -v[163:164]
	buffer_load_dword v10, off, s[60:63], 0 offset:440 ; 4-byte Folded Reload
	buffer_load_dword v11, off, s[60:63], 0 offset:444 ; 4-byte Folded Reload
	;; [unrolled: 1-line block ×4, first 2 shown]
	v_add_f64 v[163:164], v[94:95], v[163:164]
	v_add_f64 v[163:164], v[172:173], v[163:164]
	v_mul_f64 v[172:173], v[229:230], s[26:27]
	v_add_f64 v[14:15], v[14:15], v[163:164]
	v_mul_f64 v[163:164], v[237:238], s[40:41]
	s_waitcnt vmcnt(2)
	v_add_f64 v[249:250], v[249:250], v[10:11]
	s_waitcnt vmcnt(0)
	v_add_f64 v[152:153], v[152:153], v[21:22]
	buffer_load_dword v21, off, s[60:63], 0 offset:432 ; 4-byte Folded Reload
	buffer_load_dword v22, off, s[60:63], 0 offset:436 ; 4-byte Folded Reload
	v_add_f64 v[10:11], v[174:175], v[165:166]
	v_mul_f64 v[165:166], v[215:216], s[16:17]
	v_mul_f64 v[174:175], v[221:222], s[2:3]
	v_add_f64 v[10:11], v[249:250], v[10:11]
	v_mul_f64 v[249:250], v[229:230], s[40:41]
	v_add_f64 v[10:11], v[152:153], v[10:11]
	v_mul_f64 v[152:153], v[237:238], s[24:25]
	s_waitcnt vmcnt(0)
	v_add_f64 v[165:166], v[165:166], v[21:22]
	buffer_load_dword v21, off, s[60:63], 0 offset:448 ; 4-byte Folded Reload
	buffer_load_dword v22, off, s[60:63], 0 offset:452 ; 4-byte Folded Reload
	s_nop 0
	buffer_store_dword v34, off, s[60:63], 0 offset:152 ; 4-byte Folded Spill
	s_nop 0
	buffer_store_dword v35, off, s[60:63], 0 offset:156 ; 4-byte Folded Spill
	buffer_store_dword v36, off, s[60:63], 0 offset:160 ; 4-byte Folded Spill
	;; [unrolled: 1-line block ×3, first 2 shown]
	buffer_load_dword v16, off, s[60:63], 0 offset:400 ; 4-byte Folded Reload
	buffer_load_dword v17, off, s[60:63], 0 offset:404 ; 4-byte Folded Reload
	v_mov_b32_e32 v34, v213
	v_mov_b32_e32 v35, v214
	v_mul_f64 v[213:214], v[245:246], s[50:51]
	v_add_f64 v[10:11], v[165:166], v[10:11]
	s_waitcnt vmcnt(6)
	v_add_f64 v[253:254], v[21:22], -v[253:254]
	buffer_load_dword v21, off, s[60:63], 0 offset:416 ; 4-byte Folded Reload
	buffer_load_dword v22, off, s[60:63], 0 offset:420 ; 4-byte Folded Reload
	s_waitcnt vmcnt(2)
	v_add_f64 v[16:17], v[174:175], v[16:17]
	v_mov_b32_e32 v175, v29
	v_mov_b32_e32 v174, v28
	v_add_f64 v[14:15], v[253:254], v[14:15]
	v_mul_f64 v[253:254], v[28:29], s[48:49]
	v_add_f64 v[10:11], v[16:17], v[10:11]
	s_waitcnt vmcnt(0)
	v_add_f64 v[8:9], v[21:22], -v[8:9]
	buffer_load_dword v21, off, s[60:63], 0 offset:184 ; 4-byte Folded Reload
	buffer_load_dword v22, off, s[60:63], 0 offset:188 ; 4-byte Folded Reload
	v_add_f64 v[8:9], v[8:9], v[14:15]
	s_waitcnt vmcnt(0)
	v_add_f64 v[158:159], v[21:22], -v[203:204]
	buffer_load_dword v21, off, s[60:63], 0 offset:176 ; 4-byte Folded Reload
	buffer_load_dword v22, off, s[60:63], 0 offset:180 ; 4-byte Folded Reload
	;; [unrolled: 1-line block ×8, first 2 shown]
	v_add_f64 v[12:13], v[158:159], v[12:13]
	v_mul_f64 v[158:159], v[24:25], s[48:49]
	s_waitcnt vmcnt(6)
	v_add_f64 v[160:161], v[172:173], v[21:22]
	s_waitcnt vmcnt(4)
	v_add_f64 v[16:17], v[16:17], -v[189:190]
	s_waitcnt vmcnt(2)
	v_add_f64 v[6:7], v[6:7], -v[18:19]
	buffer_load_dword v18, off, s[60:63], 0 offset:392 ; 4-byte Folded Reload
	buffer_load_dword v19, off, s[60:63], 0 offset:396 ; 4-byte Folded Reload
	;; [unrolled: 1-line block ×4, first 2 shown]
	s_nop 0
	buffer_store_dword v40, off, s[60:63], 0 offset:136 ; 4-byte Folded Spill
	s_nop 0
	buffer_store_dword v41, off, s[60:63], 0 offset:140 ; 4-byte Folded Spill
	buffer_store_dword v42, off, s[60:63], 0 offset:144 ; 4-byte Folded Spill
	;; [unrolled: 1-line block ×3, first 2 shown]
	buffer_load_dword v0, off, s[60:63], 0 offset:472 ; 4-byte Folded Reload
	buffer_load_dword v1, off, s[60:63], 0 offset:476 ; 4-byte Folded Reload
	s_waitcnt vmcnt(10)
	v_add_f64 v[14:15], v[156:157], v[14:15]
	v_add_f64 v[10:11], v[160:161], v[10:11]
	;; [unrolled: 1-line block ×4, first 2 shown]
	buffer_load_dword v6, off, s[60:63], 0 offset:168 ; 4-byte Folded Reload
	buffer_load_dword v7, off, s[60:63], 0 offset:172 ; 4-byte Folded Reload
	v_mul_f64 v[12:13], v[211:212], s[48:49]
	v_mov_b32_e32 v173, v27
	v_mov_b32_e32 v172, v26
	v_mul_f64 v[16:17], v[172:173], s[30:31]
	v_mov_b32_e32 v41, v39
	v_mov_b32_e32 v40, v38
	;; [unrolled: 1-line block ×7, first 2 shown]
	v_fma_f64 v[160:161], v[185:186], s[28:29], -v[16:17]
	v_mov_b32_e32 v36, v30
	v_add_f64 v[160:161], v[92:93], v[160:161]
	s_waitcnt vmcnt(10)
	v_add_f64 v[18:19], v[163:164], v[18:19]
	s_waitcnt vmcnt(8)
	v_add_f64 v[156:157], v[21:22], -v[195:196]
	v_mul_f64 v[163:164], v[219:220], s[42:43]
	s_waitcnt vmcnt(2)
	v_add_f64 v[0:1], v[4:5], v[0:1]
	v_add_f64 v[4:5], v[92:93], v[14:15]
	v_fma_f64 v[14:15], v[187:188], s[28:29], v[2:3]
	v_fma_f64 v[2:3], v[187:188], s[28:29], -v[2:3]
	v_add_f64 v[176:177], v[18:19], v[10:11]
	buffer_load_dword v10, off, s[60:63], 0 offset:424 ; 4-byte Folded Reload
	buffer_load_dword v11, off, s[60:63], 0 offset:428 ; 4-byte Folded Reload
	v_add_f64 v[8:9], v[156:157], v[8:9]
	v_mul_f64 v[18:19], v[207:208], s[54:55]
	v_add_f64 v[0:1], v[0:1], v[4:5]
	buffer_load_dword v4, off, s[60:63], 0 offset:384 ; 4-byte Folded Reload
	buffer_load_dword v5, off, s[60:63], 0 offset:388 ; 4-byte Folded Reload
	v_fma_f64 v[156:157], v[193:194], s[40:41], v[12:13]
	v_add_f64 v[14:15], v[94:95], v[14:15]
	v_fma_f64 v[12:13], v[193:194], s[40:41], -v[12:13]
	v_add_f64 v[2:3], v[94:95], v[2:3]
	s_waitcnt vmcnt(4)
	v_add_f64 v[6:7], v[6:7], -v[213:214]
	v_fma_f64 v[165:166], v[199:200], s[16:17], v[18:19]
	v_fma_f64 v[18:19], v[199:200], s[16:17], -v[18:19]
	v_add_f64 v[14:15], v[156:157], v[14:15]
	v_mul_f64 v[156:157], v[28:29], s[54:55]
	v_add_f64 v[2:3], v[12:13], v[2:3]
	v_mul_f64 v[28:29], v[247:248], s[44:45]
	;; [unrolled: 2-line block ×3, first 2 shown]
	v_fma_f64 v[189:190], v[197:198], s[16:17], -v[156:157]
	v_add_f64 v[2:3], v[18:19], v[2:3]
	s_waitcnt vmcnt(2)
	v_add_f64 v[10:11], v[181:182], v[10:11]
	v_mul_f64 v[180:181], v[227:228], s[50:51]
	s_waitcnt vmcnt(0)
	v_add_f64 v[4:5], v[251:252], v[4:5]
	v_mul_f64 v[251:252], v[247:248], s[38:39]
	v_add_f64 v[0:1], v[10:11], v[0:1]
	buffer_load_dword v10, off, s[60:63], 0 offset:352 ; 4-byte Folded Reload
	buffer_load_dword v11, off, s[60:63], 0 offset:356 ; 4-byte Folded Reload
	;; [unrolled: 1-line block ×4, first 2 shown]
	v_fma_f64 v[195:196], v[217:218], s[24:25], v[180:181]
	v_add_f64 v[0:1], v[4:5], v[0:1]
	buffer_load_dword v4, off, s[60:63], 0 offset:336 ; 4-byte Folded Reload
	buffer_load_dword v5, off, s[60:63], 0 offset:340 ; 4-byte Folded Reload
	s_waitcnt vmcnt(4)
	v_add_f64 v[10:11], v[152:153], v[10:11]
	s_waitcnt vmcnt(2)
	v_add_f64 v[152:153], v[183:184], v[21:22]
	v_mov_b32_e32 v184, v20
	buffer_load_dword v20, off, s[60:63], 0 offset:496 ; 4-byte Folded Reload
	buffer_load_dword v21, off, s[60:63], 0 offset:500 ; 4-byte Folded Reload
	v_fma_f64 v[182:183], v[209:210], s[8:9], v[163:164]
	v_fma_f64 v[163:164], v[209:210], s[8:9], -v[163:164]
	s_waitcnt vmcnt(2)
	v_add_f64 v[4:5], v[154:155], v[4:5]
	v_fma_f64 v[154:155], v[191:192], s[40:41], -v[158:159]
	v_add_f64 v[0:1], v[152:153], v[0:1]
	v_fma_f64 v[158:159], v[191:192], s[40:41], v[158:159]
	v_add_f64 v[14:15], v[182:183], v[14:15]
	v_fma_f64 v[182:183], v[205:206], s[8:9], -v[165:166]
	v_add_f64 v[2:3], v[163:164], v[2:3]
	v_mul_f64 v[163:164], v[172:173], s[58:59]
	v_fma_f64 v[165:166], v[205:206], s[8:9], v[165:166]
	v_add_f64 v[154:155], v[154:155], v[160:161]
	v_mul_f64 v[160:161], v[233:234], s[46:47]
	v_add_f64 v[0:1], v[4:5], v[0:1]
	v_mul_f64 v[4:5], v[225:226], s[50:51]
	;; [unrolled: 2-line block ×4, first 2 shown]
	v_fma_f64 v[203:204], v[223:224], s[26:27], v[160:161]
	v_fma_f64 v[213:214], v[215:216], s[24:25], -v[4:5]
	v_fma_f64 v[4:5], v[215:216], s[24:25], v[4:5]
	v_fma_f64 v[12:13], v[221:222], s[26:27], -v[195:196]
	v_add_f64 v[154:155], v[182:183], v[154:155]
	v_fma_f64 v[182:183], v[235:236], s[2:3], v[189:190]
	v_add_f64 v[14:15], v[203:204], v[14:15]
	v_mul_f64 v[203:204], v[241:242], s[10:11]
	v_add_f64 v[154:155], v[213:214], v[154:155]
	v_add_f64 v[14:15], v[182:183], v[14:15]
	v_fma_f64 v[18:19], v[229:230], s[2:3], -v[203:204]
	v_add_f64 v[12:13], v[12:13], v[154:155]
	v_add_f64 v[154:155], v[6:7], v[8:9]
	v_mul_f64 v[6:7], v[201:202], s[58:59]
	v_fma_f64 v[8:9], v[237:238], s[20:21], -v[251:252]
	v_fma_f64 v[251:252], v[237:238], s[20:21], v[251:252]
	s_waitcnt vmcnt(0)
	v_add_f64 v[152:153], v[249:250], v[20:21]
	v_mul_f64 v[249:250], v[245:246], s[38:39]
	v_add_f64 v[0:1], v[152:153], v[0:1]
	v_fma_f64 v[213:214], v[239:240], s[20:21], v[249:250]
	v_add_f64 v[152:153], v[10:11], v[0:1]
	v_add_f64 v[182:183], v[213:214], v[14:15]
	v_fma_f64 v[0:1], v[217:218], s[24:25], -v[180:181]
	v_fma_f64 v[14:15], v[185:186], s[28:29], v[16:17]
	v_add_f64 v[10:11], v[18:19], v[12:13]
	v_fma_f64 v[16:17], v[223:224], s[26:27], -v[160:161]
	v_mul_f64 v[18:19], v[211:212], s[10:11]
	v_fma_f64 v[160:161], v[187:188], s[24:25], v[6:7]
	v_mul_f64 v[213:214], v[24:25], s[10:11]
	v_fma_f64 v[12:13], v[239:240], s[20:21], -v[249:250]
	v_add_f64 v[0:1], v[0:1], v[2:3]
	v_add_f64 v[14:15], v[92:93], v[14:15]
	v_fma_f64 v[2:3], v[235:236], s[2:3], -v[189:190]
	v_mul_f64 v[189:190], v[207:208], s[48:49]
	v_fma_f64 v[180:181], v[193:194], s[2:3], v[18:19]
	v_add_f64 v[160:161], v[94:95], v[160:161]
	v_mul_f64 v[249:250], v[219:220], s[22:23]
	v_mul_f64 v[24:25], v[233:234], s[42:43]
	v_add_f64 v[0:1], v[16:17], v[0:1]
	v_fma_f64 v[16:17], v[197:198], s[16:17], v[156:157]
	v_fma_f64 v[156:157], v[185:186], s[24:25], -v[163:164]
	v_add_f64 v[14:15], v[158:159], v[14:15]
	v_fma_f64 v[158:159], v[199:200], s[40:41], v[189:190]
	v_add_f64 v[160:161], v[180:181], v[160:161]
	v_fma_f64 v[180:181], v[191:192], s[2:3], -v[213:214]
	v_fma_f64 v[20:21], v[209:210], s[16:17], v[249:250]
	v_add_f64 v[0:1], v[2:3], v[0:1]
	v_fma_f64 v[6:7], v[187:188], s[24:25], -v[6:7]
	v_add_f64 v[156:157], v[92:93], v[156:157]
	v_add_f64 v[14:15], v[16:17], v[14:15]
	v_mul_f64 v[16:17], v[227:228], s[34:35]
	v_add_f64 v[22:23], v[158:159], v[160:161]
	v_mul_f64 v[160:161], v[40:41], s[22:23]
	v_fma_f64 v[158:159], v[197:198], s[40:41], -v[253:254]
	v_mul_f64 v[2:3], v[241:242], s[52:53]
	v_add_f64 v[156:157], v[180:181], v[156:157]
	v_add_f64 v[14:15], v[165:166], v[14:15]
	v_fma_f64 v[26:27], v[217:218], s[20:21], v[16:17]
	v_add_f64 v[20:21], v[20:21], v[22:23]
	v_fma_f64 v[22:23], v[221:222], s[26:27], v[195:196]
	v_mul_f64 v[195:196], v[225:226], s[34:35]
	v_fma_f64 v[165:166], v[205:206], s[16:17], -v[160:161]
	v_fma_f64 v[30:31], v[229:230], s[28:29], -v[2:3]
	v_add_f64 v[156:157], v[158:159], v[156:157]
	v_add_f64 v[4:5], v[4:5], v[14:15]
	v_mul_f64 v[14:15], v[243:244], s[52:53]
	v_fma_f64 v[158:159], v[223:224], s[8:9], v[24:25]
	v_add_f64 v[20:21], v[26:27], v[20:21]
	v_fma_f64 v[26:27], v[229:230], s[2:3], v[203:204]
	v_mul_f64 v[203:204], v[231:232], s[42:43]
	v_fma_f64 v[180:181], v[215:216], s[20:21], -v[195:196]
	v_add_f64 v[156:157], v[165:166], v[156:157]
	v_add_f64 v[4:5], v[22:23], v[4:5]
	v_mul_f64 v[22:23], v[245:246], s[44:45]
	v_fma_f64 v[165:166], v[235:236], s[28:29], v[14:15]
	v_add_f64 v[20:21], v[158:159], v[20:21]
	v_fma_f64 v[16:17], v[217:218], s[20:21], -v[16:17]
	v_fma_f64 v[158:159], v[221:222], s[8:9], -v[203:204]
	;; [unrolled: 1-line block ×3, first 2 shown]
	v_add_f64 v[156:157], v[180:181], v[156:157]
	v_add_f64 v[4:5], v[26:27], v[4:5]
	v_fma_f64 v[26:27], v[239:240], s[26:27], v[22:23]
	v_add_f64 v[180:181], v[8:9], v[10:11]
	v_add_f64 v[20:21], v[165:166], v[20:21]
	v_fma_f64 v[8:9], v[185:186], s[24:25], v[163:164]
	v_fma_f64 v[2:3], v[229:230], s[28:29], v[2:3]
	v_fma_f64 v[10:11], v[237:238], s[26:27], -v[28:29]
	v_add_f64 v[32:33], v[158:159], v[156:157]
	v_add_f64 v[158:159], v[12:13], v[0:1]
	;; [unrolled: 1-line block ×3, first 2 shown]
	v_fma_f64 v[0:1], v[193:194], s[2:3], -v[18:19]
	v_add_f64 v[4:5], v[94:95], v[6:7]
	v_add_f64 v[166:167], v[26:27], v[20:21]
	v_fma_f64 v[18:19], v[199:200], s[40:41], -v[189:190]
	v_mul_f64 v[20:21], v[201:202], s[46:47]
	v_add_f64 v[12:13], v[30:31], v[32:33]
	v_fma_f64 v[6:7], v[239:240], s[26:27], -v[22:23]
	v_fma_f64 v[22:23], v[191:192], s[2:3], v[213:214]
	v_mov_b32_e32 v214, v35
	v_add_f64 v[0:1], v[0:1], v[4:5]
	v_fma_f64 v[4:5], v[223:224], s[8:9], -v[24:25]
	v_mov_b32_e32 v213, v34
	v_add_f64 v[8:9], v[92:93], v[8:9]
	v_fma_f64 v[24:25], v[209:210], s[16:17], -v[249:250]
	v_mul_f64 v[26:27], v[211:212], s[58:59]
	v_fma_f64 v[30:31], v[187:188], s[26:27], v[20:21]
	v_add_f64 v[32:33], v[94:95], v[98:99]
	v_add_f64 v[0:1], v[18:19], v[0:1]
	v_add_f64 v[34:35], v[92:93], v[96:97]
	v_fma_f64 v[18:19], v[197:198], s[40:41], v[253:254]
	v_add_f64 v[8:9], v[22:23], v[8:9]
	v_mul_f64 v[22:23], v[207:208], s[30:31]
	v_fma_f64 v[96:97], v[193:194], s[24:25], v[26:27]
	v_add_f64 v[30:31], v[94:95], v[30:31]
	v_add_f64 v[32:33], v[32:33], v[102:103]
	;; [unrolled: 1-line block ×4, first 2 shown]
	v_fma_f64 v[24:25], v[205:206], s[16:17], v[160:161]
	v_add_f64 v[8:9], v[18:19], v[8:9]
	v_mul_f64 v[18:19], v[219:220], s[10:11]
	v_fma_f64 v[98:99], v[199:200], s[28:29], v[22:23]
	v_add_f64 v[30:31], v[96:97], v[30:31]
	v_add_f64 v[32:33], v[32:33], v[110:111]
	;; [unrolled: 1-line block ×4, first 2 shown]
	v_fma_f64 v[20:21], v[187:188], s[26:27], -v[20:21]
	v_add_f64 v[8:9], v[24:25], v[8:9]
	v_mul_f64 v[24:25], v[227:228], s[18:19]
	v_fma_f64 v[96:97], v[209:210], s[2:3], v[18:19]
	v_add_f64 v[30:31], v[98:99], v[30:31]
	v_add_f64 v[32:33], v[32:33], v[122:123]
	;; [unrolled: 1-line block ×4, first 2 shown]
	v_mul_f64 v[110:111], v[42:43], s[58:59]
	v_fma_f64 v[26:27], v[193:194], s[24:25], -v[26:27]
	v_fma_f64 v[98:99], v[217:218], s[8:9], v[24:25]
	v_add_f64 v[20:21], v[94:95], v[20:21]
	v_add_f64 v[30:31], v[96:97], v[30:31]
	v_mul_f64 v[122:123], v[174:175], s[30:31]
	v_add_f64 v[0:1], v[14:15], v[0:1]
	v_add_f64 v[14:15], v[32:33], v[130:131]
	;; [unrolled: 1-line block ×3, first 2 shown]
	v_fma_f64 v[94:95], v[191:192], s[24:25], v[110:111]
	v_fma_f64 v[110:111], v[191:192], s[24:25], -v[110:111]
	v_fma_f64 v[22:23], v[199:200], s[28:29], -v[22:23]
	v_add_f64 v[30:31], v[98:99], v[30:31]
	v_mul_f64 v[98:99], v[172:173], s[46:47]
	v_add_f64 v[96:97], v[6:7], v[0:1]
	v_add_f64 v[6:7], v[14:15], v[134:135]
	;; [unrolled: 1-line block ×4, first 2 shown]
	v_fma_f64 v[16:17], v[215:216], s[20:21], v[195:196]
	v_mul_f64 v[108:109], v[40:41], s[10:11]
	v_fma_f64 v[26:27], v[197:198], s[28:29], v[122:123]
	v_fma_f64 v[120:121], v[185:186], s[26:27], v[98:99]
	v_fma_f64 v[98:99], v[185:186], s[26:27], -v[98:99]
	v_add_f64 v[6:7], v[6:7], v[142:143]
	v_add_f64 v[14:15], v[14:15], v[140:141]
	v_fma_f64 v[18:19], v[209:210], s[2:3], -v[18:19]
	v_add_f64 v[20:21], v[22:23], v[20:21]
	v_fma_f64 v[4:5], v[221:222], s[8:9], v[203:204]
	v_add_f64 v[8:9], v[16:17], v[8:9]
	v_add_f64 v[120:121], v[92:93], v[120:121]
	;; [unrolled: 1-line block ×5, first 2 shown]
	v_fma_f64 v[98:99], v[197:198], s[28:29], -v[122:123]
	v_mul_f64 v[16:17], v[233:234], s[48:49]
	v_mul_f64 v[102:103], v[225:226], s[18:19]
	v_fma_f64 v[22:23], v[205:206], s[2:3], v[108:109]
	v_add_f64 v[94:95], v[94:95], v[120:121]
	v_add_f64 v[92:93], v[110:111], v[92:93]
	;; [unrolled: 1-line block ×4, first 2 shown]
	v_fma_f64 v[24:25], v[217:218], s[8:9], -v[24:25]
	v_add_f64 v[18:19], v[18:19], v[20:21]
	v_add_f64 v[4:5], v[4:5], v[8:9]
	v_mul_f64 v[8:9], v[243:244], s[38:39]
	v_add_f64 v[26:27], v[26:27], v[94:95]
	v_fma_f64 v[94:95], v[205:206], s[2:3], -v[108:109]
	v_add_f64 v[6:7], v[6:7], v[118:119]
	v_add_f64 v[14:15], v[14:15], v[116:117]
	;; [unrolled: 1-line block ×3, first 2 shown]
	v_fma_f64 v[34:35], v[223:224], s[40:41], v[16:17]
	v_mul_f64 v[100:101], v[231:232], s[48:49]
	v_fma_f64 v[20:21], v[215:216], s[8:9], v[102:103]
	v_add_f64 v[22:23], v[22:23], v[26:27]
	v_fma_f64 v[26:27], v[215:216], s[8:9], -v[102:103]
	v_add_f64 v[6:7], v[6:7], v[114:115]
	v_add_f64 v[14:15], v[14:15], v[112:113]
	;; [unrolled: 1-line block ×3, first 2 shown]
	v_fma_f64 v[16:17], v[223:224], s[40:41], -v[16:17]
	v_add_f64 v[18:19], v[24:25], v[18:19]
	v_fma_f64 v[0:1], v[237:238], s[26:27], v[28:29]
	v_add_f64 v[28:29], v[2:3], v[4:5]
	v_mul_f64 v[2:3], v[245:246], s[22:23]
	v_fma_f64 v[4:5], v[235:236], s[20:21], v[8:9]
	v_add_f64 v[30:31], v[34:35], v[30:31]
	v_mul_f64 v[34:35], v[241:242], s[38:39]
	v_add_f64 v[6:7], v[6:7], v[106:107]
	v_add_f64 v[14:15], v[14:15], v[104:105]
	v_fma_f64 v[24:25], v[221:222], s[40:41], v[100:101]
	v_add_f64 v[20:21], v[20:21], v[22:23]
	v_fma_f64 v[22:23], v[221:222], s[40:41], -v[100:101]
	v_add_f64 v[26:27], v[26:27], v[92:93]
	v_fma_f64 v[8:9], v[235:236], s[20:21], -v[8:9]
	v_add_f64 v[16:17], v[16:17], v[18:19]
	buffer_load_dword v163, off, s[60:63], 0 offset:216 ; 4-byte Folded Reload
	buffer_load_dword v249, off, s[60:63], 0 offset:224 ; 4-byte Folded Reload
	;; [unrolled: 1-line block ×7, first 2 shown]
	v_add_f64 v[6:7], v[6:7], v[90:91]
	v_add_f64 v[14:15], v[14:15], v[88:89]
	;; [unrolled: 1-line block ×3, first 2 shown]
	v_fma_f64 v[24:25], v[229:230], s[20:21], -v[34:35]
	v_add_f64 v[22:23], v[22:23], v[26:27]
	v_fma_f64 v[26:27], v[239:240], s[16:17], -v[2:3]
	v_add_f64 v[8:9], v[8:9], v[16:17]
	buffer_load_dword v88, off, s[60:63], 0 offset:256 ; 4-byte Folded Reload
	buffer_load_dword v89, off, s[60:63], 0 offset:260 ; 4-byte Folded Reload
	;; [unrolled: 1-line block ×4, first 2 shown]
	v_add_f64 v[30:31], v[4:5], v[30:31]
	v_add_f64 v[6:7], v[6:7], v[170:171]
	;; [unrolled: 1-line block ×3, first 2 shown]
	v_mul_f64 v[32:33], v[247:248], s[22:23]
	v_add_f64 v[22:23], v[24:25], v[22:23]
	v_fma_f64 v[18:19], v[229:230], s[20:21], v[34:35]
	v_add_f64 v[4:5], v[26:27], v[8:9]
	buffer_load_dword v24, off, s[60:63], 0 offset:8 ; 4-byte Folded Reload
	buffer_load_dword v25, off, s[60:63], 0 offset:12 ; 4-byte Folded Reload
	;; [unrolled: 1-line block ×4, first 2 shown]
	v_add_f64 v[94:95], v[0:1], v[28:29]
	v_mul_lo_u16_e32 v0, 17, v184
	v_lshl_add_u32 v0, v0, 4, v214
	v_fma_f64 v[16:17], v[237:238], s[16:17], v[32:33]
	v_fma_f64 v[32:33], v[237:238], s[16:17], -v[32:33]
	v_add_f64 v[18:19], v[18:19], v[20:21]
	v_fma_f64 v[20:21], v[239:240], s[16:17], v[2:3]
	v_add_f64 v[164:165], v[10:11], v[12:13]
	v_add_f64 v[2:3], v[16:17], v[18:19]
	s_waitcnt vmcnt(4)
	v_add_f64 v[6:7], v[6:7], v[90:91]
	v_add_f64 v[14:15], v[14:15], v[88:89]
	;; [unrolled: 1-line block ×4, first 2 shown]
	v_mov_b32_e32 v30, v36
	v_mov_b32_e32 v31, v37
	;; [unrolled: 1-line block ×4, first 2 shown]
	s_waitcnt vmcnt(0)
	v_add_f64 v[8:9], v[6:7], v[26:27]
	v_add_f64 v[6:7], v[14:15], v[24:25]
	buffer_load_dword v34, off, s[60:63], 0 offset:152 ; 4-byte Folded Reload
	buffer_load_dword v35, off, s[60:63], 0 offset:156 ; 4-byte Folded Reload
	;; [unrolled: 1-line block ×4, first 2 shown]
	ds_write_b128 v0, v[6:9]
	ds_write_b128 v0, v[2:5] offset:16
	ds_write_b128 v0, v[94:97] offset:32
	ds_write_b128 v0, v[156:159] offset:48
	ds_write_b128 v0, v[152:155] offset:64
	ds_write_b128 v0, v[176:179] offset:80
	buffer_load_dword v1, off, s[60:63], 0 offset:136 ; 4-byte Folded Reload
	buffer_load_dword v2, off, s[60:63], 0 offset:140 ; 4-byte Folded Reload
	buffer_load_dword v3, off, s[60:63], 0 offset:144 ; 4-byte Folded Reload
	buffer_load_dword v4, off, s[60:63], 0 offset:148 ; 4-byte Folded Reload
	s_waitcnt vmcnt(0)
	ds_write_b128 v0, v[1:4] offset:96
	buffer_load_dword v1, off, s[60:63], 0 offset:320 ; 4-byte Folded Reload
	buffer_load_dword v2, off, s[60:63], 0 offset:324 ; 4-byte Folded Reload
	buffer_load_dword v3, off, s[60:63], 0 offset:328 ; 4-byte Folded Reload
	buffer_load_dword v4, off, s[60:63], 0 offset:332 ; 4-byte Folded Reload
	s_waitcnt vmcnt(0)
	ds_write_b128 v0, v[1:4] offset:112
	;; [unrolled: 6-line block ×6, first 2 shown]
	ds_write_b128 v0, v[148:151] offset:192
	ds_write_b128 v0, v[144:147] offset:208
	;; [unrolled: 1-line block ×5, first 2 shown]
.LBB0_17:
	s_or_b64 exec, exec, s[36:37]
	s_waitcnt lgkmcnt(0)
	s_barrier
	ds_read_b128 v[96:99], v255
	ds_read_b128 v[92:95], v255 offset:544
	ds_read_b128 v[112:115], v255 offset:3536
	;; [unrolled: 1-line block ×11, first 2 shown]
	s_and_saveexec_b64 s[2:3], s[0:1]
	s_cbranch_execz .LBB0_19
; %bb.18:
	ds_read_b128 v[148:151], v255 offset:3264
	ds_read_b128 v[144:147], v255 offset:6800
.LBB0_19:
	s_or_b64 exec, exec, s[2:3]
	s_waitcnt lgkmcnt(9)
	v_mul_f64 v[12:13], v[36:37], v[114:115]
	v_mul_f64 v[14:15], v[36:37], v[112:113]
	buffer_load_dword v124, off, s[60:63], 0 offset:40 ; 4-byte Folded Reload
	buffer_load_dword v125, off, s[60:63], 0 offset:44 ; 4-byte Folded Reload
	;; [unrolled: 1-line block ×8, first 2 shown]
	s_waitcnt lgkmcnt(8)
	v_mul_f64 v[16:17], v[32:33], v[110:111]
	v_mul_f64 v[18:19], v[32:33], v[108:109]
	v_fma_f64 v[12:13], v[34:35], v[112:113], v[12:13]
	v_fma_f64 v[14:15], v[34:35], v[114:115], -v[14:15]
	v_fma_f64 v[28:29], v[30:31], v[108:109], v[16:17]
	v_fma_f64 v[30:31], v[30:31], v[110:111], -v[18:19]
	v_add_f64 v[16:17], v[96:97], -v[12:13]
	v_add_f64 v[18:19], v[98:99], -v[14:15]
	s_waitcnt vmcnt(4) lgkmcnt(5)
	v_mul_f64 v[20:21], v[126:127], v[122:123]
	s_waitcnt vmcnt(0) lgkmcnt(4)
	v_mul_f64 v[24:25], v[38:39], v[118:119]
	v_mul_f64 v[26:27], v[38:39], v[116:117]
	;; [unrolled: 1-line block ×3, first 2 shown]
	v_fma_f64 v[32:33], v[124:125], v[120:121], v[20:21]
	v_fma_f64 v[108:109], v[36:37], v[116:117], v[24:25]
	v_fma_f64 v[110:111], v[36:37], v[118:119], -v[26:27]
	buffer_load_dword v36, off, s[60:63], 0 offset:72 ; 4-byte Folded Reload
	buffer_load_dword v37, off, s[60:63], 0 offset:76 ; 4-byte Folded Reload
	;; [unrolled: 1-line block ×4, first 2 shown]
	v_fma_f64 v[34:35], v[124:125], v[122:123], -v[22:23]
	v_add_f64 v[20:21], v[92:93], -v[28:29]
	v_add_f64 v[22:23], v[94:95], -v[30:31]
	buffer_load_dword v114, off, s[60:63], 0 offset:56 ; 4-byte Folded Reload
	buffer_load_dword v115, off, s[60:63], 0 offset:60 ; 4-byte Folded Reload
	;; [unrolled: 1-line block ×4, first 2 shown]
	s_waitcnt vmcnt(0) lgkmcnt(0)
	s_barrier
	v_add_f64 v[32:33], v[4:5], -v[32:33]
	v_add_f64 v[34:35], v[6:7], -v[34:35]
	v_fma_f64 v[28:29], v[92:93], 2.0, -v[20:21]
	v_fma_f64 v[30:31], v[94:95], 2.0, -v[22:23]
	;; [unrolled: 1-line block ×4, first 2 shown]
	v_mul_f64 v[24:25], v[38:39], v[106:107]
	v_mul_f64 v[26:27], v[38:39], v[104:105]
	;; [unrolled: 1-line block ×4, first 2 shown]
	v_fma_f64 v[12:13], v[36:37], v[104:105], v[24:25]
	v_fma_f64 v[14:15], v[36:37], v[106:107], -v[26:27]
	v_fma_f64 v[24:25], v[96:97], 2.0, -v[16:17]
	v_fma_f64 v[26:27], v[98:99], 2.0, -v[18:19]
	ds_write_b128 v253, v[24:27]
	ds_write_b128 v253, v[16:19] offset:272
	ds_write_b128 v254, v[28:31]
	ds_write_b128 v254, v[20:23] offset:272
	v_add_f64 v[92:93], v[88:89], -v[12:13]
	buffer_load_dword v12, off, s[60:63], 0 offset:88 ; 4-byte Folded Reload
	v_fma_f64 v[100:101], v[114:115], v[100:101], v[38:39]
	v_add_f64 v[36:37], v[8:9], -v[108:109]
	v_add_f64 v[38:39], v[10:11], -v[110:111]
	;; [unrolled: 1-line block ×3, first 2 shown]
	v_fma_f64 v[102:103], v[114:115], v[102:103], -v[112:113]
	s_waitcnt vmcnt(0)
	ds_write_b128 v12, v[4:7]
	ds_write_b128 v12, v[32:35] offset:272
	buffer_load_dword v4, off, s[60:63], 0 offset:96 ; 4-byte Folded Reload
	v_fma_f64 v[8:9], v[8:9], 2.0, -v[36:37]
	v_fma_f64 v[10:11], v[10:11], 2.0, -v[38:39]
	;; [unrolled: 1-line block ×4, first 2 shown]
	v_add_f64 v[96:97], v[0:1], -v[100:101]
	v_add_f64 v[98:99], v[2:3], -v[102:103]
	s_waitcnt vmcnt(0)
	ds_write_b128 v4, v[8:11]
	ds_write_b128 v4, v[36:39] offset:272
	buffer_load_dword v4, off, s[60:63], 0 offset:104 ; 4-byte Folded Reload
	v_fma_f64 v[0:1], v[0:1], 2.0, -v[96:97]
	v_fma_f64 v[2:3], v[2:3], 2.0, -v[98:99]
	s_waitcnt vmcnt(0)
	ds_write_b128 v4, v[88:91]
	ds_write_b128 v4, v[92:95] offset:272
	buffer_load_dword v4, off, s[60:63], 0 offset:112 ; 4-byte Folded Reload
	s_waitcnt vmcnt(0)
	ds_write_b128 v4, v[0:3]
	ds_write_b128 v4, v[96:99] offset:272
	s_and_saveexec_b64 s[2:3], s[0:1]
	s_cbranch_execz .LBB0_21
; %bb.20:
	v_mul_f64 v[0:1], v[251:252], v[144:145]
	v_mul_f64 v[2:3], v[251:252], v[146:147]
	v_and_b32_e32 v8, 0xff, v163
	v_lshl_add_u32 v8, v8, 4, v214
	v_fma_f64 v[0:1], v[249:250], v[146:147], -v[0:1]
	v_fma_f64 v[4:5], v[249:250], v[144:145], v[2:3]
	v_add_f64 v[2:3], v[150:151], -v[0:1]
	v_add_f64 v[0:1], v[148:149], -v[4:5]
	v_fma_f64 v[6:7], v[150:151], 2.0, -v[2:3]
	v_fma_f64 v[4:5], v[148:149], 2.0, -v[0:1]
	ds_write_b128 v8, v[4:7] offset:6528
	ds_write_b128 v8, v[0:3] offset:6800
.LBB0_21:
	s_or_b64 exec, exec, s[2:3]
	s_waitcnt lgkmcnt(0)
	s_barrier
	ds_read_b128 v[0:3], v255 offset:544
	ds_read_b128 v[4:7], v255 offset:1088
	ds_read_b128 v[20:23], v255
	ds_read_b128 v[8:11], v255 offset:1632
	s_mov_b32 s8, 0x4267c47c
	s_mov_b32 s0, 0xe00740e9
	s_waitcnt lgkmcnt(2)
	v_mul_f64 v[16:17], v[82:83], v[6:7]
	v_mul_f64 v[12:13], v[86:87], v[2:3]
	;; [unrolled: 1-line block ×4, first 2 shown]
	s_waitcnt lgkmcnt(0)
	v_mul_f64 v[24:25], v[54:55], v[10:11]
	v_mul_f64 v[26:27], v[54:55], v[8:9]
	s_mov_b32 s9, 0xbfddbe06
	s_mov_b32 s1, 0x3fec55a7
	v_fma_f64 v[54:55], v[80:81], v[4:5], v[16:17]
	v_fma_f64 v[82:83], v[84:85], v[0:1], v[12:13]
	v_fma_f64 v[84:85], v[84:85], v[2:3], -v[14:15]
	ds_read_b128 v[0:3], v255 offset:2176
	ds_read_b128 v[12:15], v255 offset:2720
	v_fma_f64 v[80:81], v[80:81], v[6:7], -v[18:19]
	ds_read_b128 v[4:7], v255 offset:3264
	ds_read_b128 v[16:19], v255 offset:3808
	s_mov_b32 s18, 0x42a4c3d2
	s_waitcnt lgkmcnt(3)
	v_mul_f64 v[32:33], v[46:47], v[2:3]
	v_mul_f64 v[34:35], v[46:47], v[0:1]
	v_add_f64 v[28:29], v[20:21], v[82:83]
	v_add_f64 v[30:31], v[22:23], v[84:85]
	v_fma_f64 v[46:47], v[52:53], v[8:9], v[24:25]
	v_fma_f64 v[52:53], v[52:53], v[10:11], -v[26:27]
	s_waitcnt lgkmcnt(2)
	v_mul_f64 v[86:87], v[78:79], v[14:15]
	v_mul_f64 v[78:79], v[78:79], v[12:13]
	v_fma_f64 v[88:89], v[44:45], v[0:1], v[32:33]
	v_fma_f64 v[44:45], v[44:45], v[2:3], -v[34:35]
	v_add_f64 v[8:9], v[28:29], v[54:55]
	v_add_f64 v[10:11], v[30:31], v[80:81]
	ds_read_b128 v[24:27], v255 offset:4352
	ds_read_b128 v[28:31], v255 offset:4896
	;; [unrolled: 1-line block ×5, first 2 shown]
	buffer_load_dword v40, off, s[60:63], 0 offset:120 ; 4-byte Folded Reload
	buffer_load_dword v41, off, s[60:63], 0 offset:124 ; 4-byte Folded Reload
	;; [unrolled: 1-line block ×4, first 2 shown]
	s_waitcnt lgkmcnt(6)
	v_mul_f64 v[90:91], v[58:59], v[6:7]
	v_mul_f64 v[58:59], v[58:59], v[4:5]
	v_fma_f64 v[12:13], v[76:77], v[12:13], v[86:87]
	v_add_f64 v[8:9], v[8:9], v[46:47]
	v_add_f64 v[10:11], v[10:11], v[52:53]
	v_fma_f64 v[14:15], v[76:77], v[14:15], -v[78:79]
	s_waitcnt lgkmcnt(5)
	v_mul_f64 v[76:77], v[50:51], v[18:19]
	v_mul_f64 v[50:51], v[50:51], v[16:17]
	v_fma_f64 v[4:5], v[56:57], v[4:5], v[90:91]
	v_fma_f64 v[6:7], v[56:57], v[6:7], -v[58:59]
	s_mov_b32 s2, 0x66966769
	v_add_f64 v[8:9], v[8:9], v[88:89]
	v_add_f64 v[10:11], v[10:11], v[44:45]
	s_mov_b32 s24, 0x2ef20147
	s_mov_b32 s34, 0x24c2f84
	;; [unrolled: 1-line block ×6, first 2 shown]
	v_add_f64 v[56:57], v[8:9], v[12:13]
	v_add_f64 v[58:59], v[10:11], v[14:15]
	v_fma_f64 v[8:9], v[48:49], v[16:17], v[76:77]
	v_fma_f64 v[10:11], v[48:49], v[18:19], -v[50:51]
	s_waitcnt lgkmcnt(2)
	v_mul_f64 v[76:77], v[66:67], v[2:3]
	s_mov_b32 s19, 0xbfea55e2
	s_mov_b32 s3, 0xbfefc445
	;; [unrolled: 1-line block ×3, first 2 shown]
	v_add_f64 v[48:49], v[56:57], v[4:5]
	v_add_f64 v[50:51], v[58:59], v[6:7]
	v_mul_f64 v[56:57], v[74:75], v[30:31]
	v_mul_f64 v[58:59], v[74:75], v[28:29]
	s_waitcnt lgkmcnt(0)
	v_mul_f64 v[74:75], v[70:71], v[36:37]
	s_mov_b32 s35, 0xbfe5384d
	s_mov_b32 s37, 0xbfe7f3cc
	s_mov_b32 s41, 0xbfcea1e5
	s_mov_b32 s20, 0x1ea71119
	s_mov_b32 s10, 0xebaa3ed8
	v_fma_f64 v[28:29], v[72:73], v[28:29], v[56:57]
	v_fma_f64 v[30:31], v[72:73], v[30:31], -v[58:59]
	v_fma_f64 v[58:59], v[64:65], v[0:1], v[76:77]
	s_mov_b32 s28, 0xb2365da1
	s_mov_b32 s42, 0x93053d00
	;; [unrolled: 1-line block ×16, first 2 shown]
	s_waitcnt vmcnt(0)
	v_mul_f64 v[78:79], v[42:43], v[26:27]
	v_mul_f64 v[42:43], v[42:43], v[24:25]
	v_fma_f64 v[16:17], v[40:41], v[24:25], v[78:79]
	v_fma_f64 v[18:19], v[40:41], v[26:27], -v[42:43]
	v_add_f64 v[24:25], v[48:49], v[8:9]
	v_add_f64 v[26:27], v[50:51], v[10:11]
	v_mul_f64 v[40:41], v[70:71], v[38:39]
	v_mul_f64 v[42:43], v[66:67], v[0:1]
	v_fma_f64 v[38:39], v[68:69], v[38:39], -v[74:75]
	v_mul_f64 v[48:49], v[62:63], v[34:35]
	v_add_f64 v[24:25], v[24:25], v[16:17]
	v_add_f64 v[26:27], v[26:27], v[18:19]
	v_fma_f64 v[36:37], v[68:69], v[36:37], v[40:41]
	v_mul_f64 v[40:41], v[62:63], v[32:33]
	v_add_f64 v[50:51], v[84:85], -v[38:39]
	v_add_f64 v[56:57], v[84:85], v[38:39]
	v_fma_f64 v[42:43], v[64:65], v[2:3], -v[42:43]
	v_fma_f64 v[32:33], v[60:61], v[32:33], v[48:49]
	v_add_f64 v[0:1], v[24:25], v[28:29]
	v_add_f64 v[2:3], v[26:27], v[30:31]
	;; [unrolled: 1-line block ×3, first 2 shown]
	v_add_f64 v[26:27], v[82:83], -v[36:37]
	v_mul_f64 v[62:63], v[50:51], s[8:9]
	v_mul_f64 v[64:65], v[56:57], s[0:1]
	v_fma_f64 v[34:35], v[60:61], v[34:35], -v[40:41]
	v_mul_f64 v[66:67], v[50:51], s[2:3]
	v_add_f64 v[0:1], v[0:1], v[58:59]
	v_add_f64 v[2:3], v[2:3], v[42:43]
	v_mul_f64 v[76:77], v[50:51], s[24:25]
	v_mul_f64 v[84:85], v[50:51], s[34:35]
	v_fma_f64 v[40:41], v[24:25], s[0:1], v[62:63]
	v_fma_f64 v[48:49], v[26:27], s[26:27], v[64:65]
	v_fma_f64 v[60:61], v[24:25], s[0:1], -v[62:63]
	v_fma_f64 v[62:63], v[26:27], s[8:9], v[64:65]
	v_add_f64 v[0:1], v[0:1], v[32:33]
	v_add_f64 v[2:3], v[2:3], v[34:35]
	v_mul_f64 v[64:65], v[50:51], s[18:19]
	v_mul_f64 v[86:87], v[56:57], s[36:37]
	;; [unrolled: 1-line block ×3, first 2 shown]
	v_add_f64 v[96:97], v[80:81], v[34:35]
	v_add_f64 v[34:35], v[80:81], -v[34:35]
	v_mul_f64 v[68:69], v[56:57], s[10:11]
	v_add_f64 v[0:1], v[0:1], v[36:37]
	v_add_f64 v[2:3], v[2:3], v[38:39]
	;; [unrolled: 1-line block ×3, first 2 shown]
	v_fma_f64 v[38:39], v[24:25], s[20:21], v[64:65]
	v_mul_f64 v[62:63], v[56:57], s[20:21]
	v_fma_f64 v[64:65], v[24:25], s[20:21], -v[64:65]
	v_fma_f64 v[72:73], v[24:25], s[10:11], v[66:67]
	v_fma_f64 v[66:67], v[24:25], s[10:11], -v[66:67]
	v_fma_f64 v[78:79], v[24:25], s[28:29], v[76:77]
	v_mul_f64 v[82:83], v[56:57], s[28:29]
	v_fma_f64 v[76:77], v[24:25], s[28:29], -v[76:77]
	v_fma_f64 v[92:93], v[24:25], s[36:37], v[84:85]
	v_fma_f64 v[94:95], v[26:27], s[38:39], v[86:87]
	v_fma_f64 v[84:85], v[24:25], s[36:37], -v[84:85]
	v_fma_f64 v[86:87], v[26:27], s[34:35], v[86:87]
	v_mul_f64 v[56:57], v[56:57], s[42:43]
	v_fma_f64 v[80:81], v[24:25], s[42:43], v[50:51]
	v_add_f64 v[98:99], v[54:55], v[32:33]
	v_add_f64 v[32:33], v[54:55], -v[32:33]
	v_mul_f64 v[54:55], v[34:35], s[18:19]
	v_mul_f64 v[100:101], v[96:97], s[20:21]
	v_fma_f64 v[24:25], v[24:25], s[42:43], -v[50:51]
	v_add_f64 v[40:41], v[20:21], v[40:41]
	v_add_f64 v[48:49], v[22:23], v[48:49]
	;; [unrolled: 1-line block ×3, first 2 shown]
	v_fma_f64 v[70:71], v[26:27], s[22:23], v[62:63]
	v_add_f64 v[38:39], v[20:21], v[38:39]
	v_fma_f64 v[62:63], v[26:27], s[18:19], v[62:63]
	v_fma_f64 v[74:75], v[26:27], s[16:17], v[68:69]
	v_add_f64 v[64:65], v[20:21], v[64:65]
	v_add_f64 v[72:73], v[20:21], v[72:73]
	v_fma_f64 v[68:69], v[26:27], s[2:3], v[68:69]
	v_fma_f64 v[90:91], v[26:27], s[30:31], v[82:83]
	;; [unrolled: 1-line block ×3, first 2 shown]
	v_add_f64 v[66:67], v[20:21], v[66:67]
	v_add_f64 v[78:79], v[20:21], v[78:79]
	;; [unrolled: 1-line block ×4, first 2 shown]
	v_fma_f64 v[102:103], v[26:27], s[44:45], v[56:57]
	v_fma_f64 v[26:27], v[26:27], s[40:41], v[56:57]
	v_add_f64 v[50:51], v[20:21], v[84:85]
	v_add_f64 v[56:57], v[22:23], v[86:87]
	v_fma_f64 v[84:85], v[98:99], s[20:21], v[54:55]
	v_fma_f64 v[86:87], v[32:33], s[22:23], v[100:101]
	v_add_f64 v[80:81], v[20:21], v[80:81]
	v_add_f64 v[20:21], v[20:21], v[24:25]
	v_mul_f64 v[24:25], v[34:35], s[24:25]
	v_add_f64 v[70:71], v[22:23], v[70:71]
	v_add_f64 v[62:63], v[22:23], v[62:63]
	;; [unrolled: 1-line block ×9, first 2 shown]
	v_mul_f64 v[26:27], v[96:97], s[28:29]
	v_add_f64 v[40:41], v[84:85], v[40:41]
	v_add_f64 v[48:49], v[86:87], v[48:49]
	v_fma_f64 v[54:55], v[98:99], s[20:21], -v[54:55]
	v_fma_f64 v[84:85], v[32:33], s[18:19], v[100:101]
	v_mul_f64 v[86:87], v[34:35], s[40:41]
	v_mul_f64 v[100:101], v[96:97], s[42:43]
	v_fma_f64 v[104:105], v[98:99], s[28:29], v[24:25]
	v_fma_f64 v[24:25], v[98:99], s[28:29], -v[24:25]
	v_fma_f64 v[106:107], v[32:33], s[30:31], v[26:27]
	v_fma_f64 v[26:27], v[32:33], s[24:25], v[26:27]
	v_add_f64 v[54:55], v[54:55], v[60:61]
	v_add_f64 v[36:37], v[84:85], v[36:37]
	v_fma_f64 v[60:61], v[98:99], s[42:43], v[86:87]
	v_fma_f64 v[84:85], v[32:33], s[44:45], v[100:101]
	v_fma_f64 v[86:87], v[98:99], s[42:43], -v[86:87]
	v_add_f64 v[24:25], v[24:25], v[64:65]
	v_mul_f64 v[64:65], v[96:97], s[36:37]
	v_add_f64 v[70:71], v[106:107], v[70:71]
	v_add_f64 v[26:27], v[26:27], v[62:63]
	v_mul_f64 v[62:63], v[34:35], s[38:39]
	v_add_f64 v[60:61], v[60:61], v[72:73]
	v_add_f64 v[72:73], v[84:85], v[74:75]
	v_mul_f64 v[74:75], v[34:35], s[16:17]
	v_mul_f64 v[84:85], v[96:97], s[10:11]
	v_fma_f64 v[106:107], v[32:33], s[34:35], v[64:65]
	v_add_f64 v[38:39], v[104:105], v[38:39]
	v_fma_f64 v[64:65], v[32:33], s[38:39], v[64:65]
	v_fma_f64 v[104:105], v[98:99], s[36:37], v[62:63]
	v_fma_f64 v[62:63], v[98:99], s[36:37], -v[62:63]
	v_add_f64 v[66:67], v[86:87], v[66:67]
	v_fma_f64 v[108:109], v[98:99], s[10:11], v[74:75]
	v_fma_f64 v[110:111], v[32:33], s[2:3], v[84:85]
	v_add_f64 v[86:87], v[106:107], v[90:91]
	v_add_f64 v[90:91], v[52:53], -v[42:43]
	v_add_f64 v[42:43], v[52:53], v[42:43]
	v_fma_f64 v[100:101], v[32:33], s[40:41], v[100:101]
	v_add_f64 v[62:63], v[62:63], v[76:77]
	v_add_f64 v[64:65], v[64:65], v[82:83]
	;; [unrolled: 1-line block ×4, first 2 shown]
	v_mul_f64 v[52:53], v[96:97], s[0:1]
	v_fma_f64 v[74:75], v[98:99], s[10:11], -v[74:75]
	v_fma_f64 v[84:85], v[32:33], s[16:17], v[84:85]
	v_add_f64 v[92:93], v[46:47], v[58:59]
	v_add_f64 v[46:47], v[46:47], -v[58:59]
	v_mul_f64 v[58:59], v[90:91], s[2:3]
	v_mul_f64 v[94:95], v[42:43], s[10:11]
	v_add_f64 v[68:69], v[100:101], v[68:69]
	v_mul_f64 v[34:35], v[34:35], s[26:27]
	v_fma_f64 v[100:101], v[32:33], s[8:9], v[52:53]
	v_fma_f64 v[32:33], v[32:33], s[26:27], v[52:53]
	v_add_f64 v[50:51], v[74:75], v[50:51]
	v_add_f64 v[52:53], v[84:85], v[56:57]
	v_fma_f64 v[56:57], v[92:93], s[10:11], v[58:59]
	v_fma_f64 v[74:75], v[46:47], s[16:17], v[94:95]
	v_add_f64 v[78:79], v[104:105], v[78:79]
	v_fma_f64 v[96:97], v[98:99], s[0:1], v[34:35]
	v_fma_f64 v[34:35], v[98:99], s[0:1], -v[34:35]
	v_add_f64 v[22:23], v[32:33], v[22:23]
	v_mul_f64 v[32:33], v[90:91], s[40:41]
	v_add_f64 v[84:85], v[100:101], v[102:103]
	v_add_f64 v[40:41], v[56:57], v[40:41]
	;; [unrolled: 1-line block ×3, first 2 shown]
	v_fma_f64 v[56:57], v[92:93], s[10:11], -v[58:59]
	v_mul_f64 v[74:75], v[90:91], s[30:31]
	v_add_f64 v[80:81], v[96:97], v[80:81]
	v_add_f64 v[20:21], v[34:35], v[20:21]
	v_mul_f64 v[34:35], v[42:43], s[42:43]
	v_fma_f64 v[58:59], v[46:47], s[2:3], v[94:95]
	v_mul_f64 v[94:95], v[42:43], s[28:29]
	v_fma_f64 v[96:97], v[92:93], s[42:43], v[32:33]
	v_fma_f64 v[32:33], v[92:93], s[42:43], -v[32:33]
	v_add_f64 v[54:55], v[56:57], v[54:55]
	v_fma_f64 v[56:57], v[92:93], s[28:29], v[74:75]
	v_fma_f64 v[74:75], v[92:93], s[28:29], -v[74:75]
	v_fma_f64 v[98:99], v[46:47], s[44:45], v[34:35]
	v_fma_f64 v[34:35], v[46:47], s[40:41], v[34:35]
	v_add_f64 v[36:37], v[58:59], v[36:37]
	v_fma_f64 v[58:59], v[46:47], s[24:25], v[94:95]
	v_add_f64 v[24:25], v[32:33], v[24:25]
	v_mul_f64 v[32:33], v[90:91], s[26:27]
	v_add_f64 v[56:57], v[56:57], v[60:61]
	v_mul_f64 v[60:61], v[90:91], s[18:19]
	v_add_f64 v[38:39], v[96:97], v[38:39]
	v_add_f64 v[26:27], v[34:35], v[26:27]
	v_mul_f64 v[34:35], v[42:43], s[0:1]
	v_add_f64 v[58:59], v[58:59], v[72:73]
	v_mul_f64 v[72:73], v[42:43], s[20:21]
	v_fma_f64 v[96:97], v[92:93], s[0:1], v[32:33]
	v_fma_f64 v[32:33], v[92:93], s[0:1], -v[32:33]
	v_fma_f64 v[100:101], v[92:93], s[20:21], v[60:61]
	v_add_f64 v[70:71], v[98:99], v[70:71]
	v_fma_f64 v[94:95], v[46:47], s[30:31], v[94:95]
	v_fma_f64 v[98:99], v[46:47], s[8:9], v[34:35]
	;; [unrolled: 1-line block ×4, first 2 shown]
	v_add_f64 v[66:67], v[74:75], v[66:67]
	v_add_f64 v[32:33], v[32:33], v[62:63]
	;; [unrolled: 1-line block ×3, first 2 shown]
	v_add_f64 v[76:77], v[44:45], -v[30:31]
	v_add_f64 v[30:31], v[44:45], v[30:31]
	v_add_f64 v[74:75], v[96:97], v[78:79]
	;; [unrolled: 1-line block ×5, first 2 shown]
	v_mul_f64 v[44:45], v[90:91], s[34:35]
	v_mul_f64 v[42:43], v[42:43], s[36:37]
	v_fma_f64 v[60:61], v[92:93], s[20:21], -v[60:61]
	v_fma_f64 v[72:73], v[46:47], s[18:19], v[72:73]
	v_add_f64 v[82:83], v[88:89], v[28:29]
	v_add_f64 v[28:29], v[88:89], -v[28:29]
	v_mul_f64 v[86:87], v[76:77], s[24:25]
	v_mul_f64 v[88:89], v[30:31], s[28:29]
	v_add_f64 v[68:69], v[94:95], v[68:69]
	v_fma_f64 v[90:91], v[92:93], s[36:37], v[44:45]
	v_fma_f64 v[94:95], v[46:47], s[38:39], v[42:43]
	v_fma_f64 v[44:45], v[92:93], s[36:37], -v[44:45]
	v_fma_f64 v[42:43], v[46:47], s[34:35], v[42:43]
	v_add_f64 v[46:47], v[60:61], v[50:51]
	v_add_f64 v[50:51], v[72:73], v[52:53]
	v_fma_f64 v[52:53], v[82:83], s[28:29], v[86:87]
	v_fma_f64 v[60:61], v[28:29], s[30:31], v[88:89]
	v_add_f64 v[72:73], v[90:91], v[80:81]
	v_add_f64 v[80:81], v[94:95], v[84:85]
	;; [unrolled: 1-line block ×4, first 2 shown]
	v_mul_f64 v[42:43], v[76:77], s[38:39]
	v_mul_f64 v[44:45], v[30:31], s[36:37]
	v_add_f64 v[40:41], v[52:53], v[40:41]
	v_add_f64 v[48:49], v[60:61], v[48:49]
	v_fma_f64 v[52:53], v[82:83], s[28:29], -v[86:87]
	v_fma_f64 v[60:61], v[28:29], s[24:25], v[88:89]
	v_mul_f64 v[84:85], v[76:77], s[26:27]
	v_mul_f64 v[86:87], v[30:31], s[0:1]
	v_fma_f64 v[88:89], v[82:83], s[36:37], v[42:43]
	v_fma_f64 v[90:91], v[28:29], s[34:35], v[44:45]
	v_fma_f64 v[42:43], v[82:83], s[36:37], -v[42:43]
	v_fma_f64 v[44:45], v[28:29], s[38:39], v[44:45]
	v_add_f64 v[52:53], v[52:53], v[54:55]
	v_add_f64 v[36:37], v[60:61], v[36:37]
	v_fma_f64 v[54:55], v[82:83], s[0:1], v[84:85]
	v_fma_f64 v[60:61], v[28:29], s[8:9], v[86:87]
	v_add_f64 v[38:39], v[88:89], v[38:39]
	v_add_f64 v[70:71], v[90:91], v[70:71]
	;; [unrolled: 1-line block ×4, first 2 shown]
	v_mul_f64 v[42:43], v[76:77], s[2:3]
	v_mul_f64 v[44:45], v[30:31], s[10:11]
	v_add_f64 v[54:55], v[54:55], v[56:57]
	v_add_f64 v[56:57], v[60:61], v[58:59]
	v_fma_f64 v[58:59], v[82:83], s[0:1], -v[84:85]
	v_fma_f64 v[60:61], v[28:29], s[26:27], v[86:87]
	v_mul_f64 v[84:85], v[76:77], s[44:45]
	v_mul_f64 v[86:87], v[30:31], s[42:43]
	v_fma_f64 v[88:89], v[82:83], s[10:11], v[42:43]
	v_fma_f64 v[90:91], v[28:29], s[16:17], v[44:45]
	v_fma_f64 v[42:43], v[82:83], s[10:11], -v[42:43]
	v_fma_f64 v[44:45], v[28:29], s[2:3], v[44:45]
	v_add_f64 v[58:59], v[58:59], v[66:67]
	v_add_f64 v[60:61], v[60:61], v[68:69]
	v_fma_f64 v[66:67], v[82:83], s[42:43], v[84:85]
	v_fma_f64 v[68:69], v[28:29], s[40:41], v[86:87]
	v_mul_f64 v[30:31], v[30:31], s[20:21]
	v_add_f64 v[78:79], v[90:91], v[78:79]
	v_add_f64 v[32:33], v[42:43], v[32:33]
	;; [unrolled: 1-line block ×3, first 2 shown]
	v_mul_f64 v[42:43], v[76:77], s[22:23]
	v_add_f64 v[74:75], v[88:89], v[74:75]
	v_add_f64 v[44:45], v[66:67], v[62:63]
	;; [unrolled: 1-line block ×3, first 2 shown]
	v_add_f64 v[64:65], v[14:15], -v[18:19]
	v_add_f64 v[14:15], v[14:15], v[18:19]
	v_fma_f64 v[18:19], v[82:83], s[42:43], -v[84:85]
	v_fma_f64 v[66:67], v[28:29], s[44:45], v[86:87]
	v_fma_f64 v[68:69], v[82:83], s[20:21], v[42:43]
	v_add_f64 v[84:85], v[12:13], v[16:17]
	v_add_f64 v[12:13], v[12:13], -v[16:17]
	v_fma_f64 v[42:43], v[82:83], s[20:21], -v[42:43]
	v_mul_f64 v[16:17], v[64:65], s[34:35]
	v_mul_f64 v[86:87], v[14:15], s[36:37]
	v_fma_f64 v[76:77], v[28:29], s[18:19], v[30:31]
	v_fma_f64 v[28:29], v[28:29], s[22:23], v[30:31]
	v_add_f64 v[18:19], v[18:19], v[46:47]
	v_add_f64 v[30:31], v[66:67], v[50:51]
	;; [unrolled: 1-line block ×4, first 2 shown]
	v_fma_f64 v[66:67], v[84:85], s[36:37], v[16:17]
	v_fma_f64 v[68:69], v[12:13], s[38:39], v[86:87]
	v_mul_f64 v[42:43], v[14:15], s[10:11]
	v_add_f64 v[50:51], v[76:77], v[80:81]
	v_add_f64 v[22:23], v[28:29], v[22:23]
	v_mul_f64 v[28:29], v[64:65], s[16:17]
	v_fma_f64 v[16:17], v[84:85], s[36:37], -v[16:17]
	v_fma_f64 v[72:73], v[12:13], s[34:35], v[86:87]
	v_add_f64 v[40:41], v[66:67], v[40:41]
	v_add_f64 v[48:49], v[68:69], v[48:49]
	v_mul_f64 v[66:67], v[64:65], s[18:19]
	v_mul_f64 v[68:69], v[14:15], s[20:21]
	v_fma_f64 v[80:81], v[12:13], s[2:3], v[42:43]
	v_fma_f64 v[76:77], v[84:85], s[10:11], v[28:29]
	v_add_f64 v[16:17], v[16:17], v[52:53]
	v_add_f64 v[36:37], v[72:73], v[36:37]
	v_fma_f64 v[28:29], v[84:85], s[10:11], -v[28:29]
	v_fma_f64 v[42:43], v[12:13], s[16:17], v[42:43]
	v_fma_f64 v[52:53], v[84:85], s[20:21], v[66:67]
	;; [unrolled: 1-line block ×3, first 2 shown]
	v_add_f64 v[70:71], v[80:81], v[70:71]
	v_mul_f64 v[80:81], v[14:15], s[42:43]
	v_add_f64 v[38:39], v[76:77], v[38:39]
	v_mul_f64 v[76:77], v[64:65], s[44:45]
	v_add_f64 v[24:25], v[28:29], v[24:25]
	v_add_f64 v[26:27], v[42:43], v[26:27]
	;; [unrolled: 1-line block ×4, first 2 shown]
	v_fma_f64 v[52:53], v[84:85], s[20:21], -v[66:67]
	v_fma_f64 v[54:55], v[12:13], s[18:19], v[68:69]
	v_fma_f64 v[66:67], v[12:13], s[40:41], v[80:81]
	v_mul_f64 v[68:69], v[64:65], s[26:27]
	v_mul_f64 v[72:73], v[14:15], s[0:1]
	v_fma_f64 v[56:57], v[84:85], s[42:43], v[76:77]
	v_fma_f64 v[76:77], v[84:85], s[42:43], -v[76:77]
	v_mul_f64 v[64:65], v[64:65], s[24:25]
	v_add_f64 v[52:53], v[52:53], v[58:59]
	v_add_f64 v[54:55], v[54:55], v[60:61]
	;; [unrolled: 1-line block ×3, first 2 shown]
	v_fma_f64 v[60:61], v[84:85], s[0:1], v[68:69]
	v_fma_f64 v[66:67], v[12:13], s[8:9], v[72:73]
	v_add_f64 v[56:57], v[56:57], v[74:75]
	v_add_f64 v[32:33], v[76:77], v[32:33]
	v_fma_f64 v[68:69], v[84:85], s[0:1], -v[68:69]
	v_fma_f64 v[72:73], v[12:13], s[26:27], v[72:73]
	v_mul_f64 v[14:15], v[14:15], s[28:29]
	v_add_f64 v[74:75], v[4:5], v[8:9]
	v_add_f64 v[44:45], v[60:61], v[44:45]
	;; [unrolled: 1-line block ×3, first 2 shown]
	v_add_f64 v[62:63], v[6:7], -v[10:11]
	v_add_f64 v[66:67], v[6:7], v[10:11]
	v_fma_f64 v[6:7], v[84:85], s[28:29], v[64:65]
	v_add_f64 v[76:77], v[4:5], -v[8:9]
	v_fma_f64 v[80:81], v[12:13], s[44:45], v[80:81]
	v_add_f64 v[68:69], v[68:69], v[18:19]
	v_add_f64 v[72:73], v[72:73], v[30:31]
	v_fma_f64 v[10:11], v[12:13], s[30:31], v[14:15]
	v_mul_f64 v[4:5], v[62:63], s[40:41]
	v_mul_f64 v[8:9], v[66:67], s[42:43]
	v_fma_f64 v[18:19], v[84:85], s[28:29], -v[64:65]
	v_fma_f64 v[12:13], v[12:13], s[24:25], v[14:15]
	v_add_f64 v[46:47], v[6:7], v[46:47]
	v_mul_f64 v[30:31], v[62:63], s[26:27]
	v_mul_f64 v[64:65], v[66:67], s[0:1]
	v_add_f64 v[34:35], v[80:81], v[34:35]
	v_fma_f64 v[6:7], v[74:75], s[42:43], v[4:5]
	v_add_f64 v[50:51], v[10:11], v[50:51]
	v_fma_f64 v[10:11], v[76:77], s[44:45], v[8:9]
	v_add_f64 v[78:79], v[18:19], v[20:21]
	v_add_f64 v[80:81], v[12:13], v[22:23]
	v_fma_f64 v[12:13], v[74:75], s[42:43], -v[4:5]
	v_fma_f64 v[14:15], v[76:77], s[40:41], v[8:9]
	v_fma_f64 v[18:19], v[74:75], s[0:1], v[30:31]
	;; [unrolled: 1-line block ×3, first 2 shown]
	v_add_f64 v[4:5], v[6:7], v[40:41]
	v_mul_f64 v[22:23], v[62:63], s[34:35]
	v_mul_f64 v[40:41], v[66:67], s[36:37]
	v_add_f64 v[6:7], v[10:11], v[48:49]
	v_add_f64 v[8:9], v[12:13], v[16:17]
	v_add_f64 v[10:11], v[14:15], v[36:37]
	v_add_f64 v[12:13], v[18:19], v[38:39]
	v_add_f64 v[14:15], v[20:21], v[70:71]
	v_fma_f64 v[16:17], v[74:75], s[0:1], -v[30:31]
	v_fma_f64 v[18:19], v[76:77], s[26:27], v[64:65]
	v_fma_f64 v[20:21], v[74:75], s[36:37], v[22:23]
	;; [unrolled: 1-line block ×3, first 2 shown]
	v_mul_f64 v[36:37], v[62:63], s[22:23]
	v_mul_f64 v[38:39], v[66:67], s[20:21]
	v_fma_f64 v[40:41], v[76:77], s[34:35], v[40:41]
	v_fma_f64 v[48:49], v[74:75], s[36:37], -v[22:23]
	v_add_f64 v[16:17], v[16:17], v[24:25]
	v_add_f64 v[18:19], v[18:19], v[26:27]
	;; [unrolled: 1-line block ×4, first 2 shown]
	v_fma_f64 v[28:29], v[74:75], s[20:21], v[36:37]
	v_fma_f64 v[30:31], v[76:77], s[18:19], v[38:39]
	v_add_f64 v[26:27], v[40:41], v[54:55]
	v_fma_f64 v[36:37], v[74:75], s[20:21], -v[36:37]
	v_fma_f64 v[38:39], v[76:77], s[22:23], v[38:39]
	v_mul_f64 v[40:41], v[62:63], s[24:25]
	v_mul_f64 v[42:43], v[66:67], s[28:29]
	v_add_f64 v[24:25], v[48:49], v[52:53]
	v_mul_f64 v[48:49], v[62:63], s[16:17]
	v_mul_f64 v[52:53], v[66:67], s[10:11]
	v_add_f64 v[28:29], v[28:29], v[56:57]
	v_add_f64 v[32:33], v[36:37], v[32:33]
	;; [unrolled: 1-line block ×3, first 2 shown]
	v_fma_f64 v[36:37], v[74:75], s[28:29], v[40:41]
	v_fma_f64 v[38:39], v[76:77], s[30:31], v[42:43]
	v_fma_f64 v[40:41], v[74:75], s[28:29], -v[40:41]
	v_fma_f64 v[54:55], v[74:75], s[10:11], v[48:49]
	v_fma_f64 v[56:57], v[76:77], s[2:3], v[52:53]
	v_fma_f64 v[48:49], v[74:75], s[10:11], -v[48:49]
	v_fma_f64 v[52:53], v[76:77], s[16:17], v[52:53]
	v_fma_f64 v[42:43], v[76:77], s[24:25], v[42:43]
	v_add_f64 v[30:31], v[30:31], v[58:59]
	v_add_f64 v[36:37], v[36:37], v[44:45]
	;; [unrolled: 1-line block ×9, first 2 shown]
	ds_write_b128 v162, v[0:3]
	ds_write_b128 v162, v[4:7] offset:544
	ds_write_b128 v162, v[12:15] offset:1088
	;; [unrolled: 1-line block ×12, first 2 shown]
	s_waitcnt lgkmcnt(0)
	s_barrier
	buffer_load_dword v18, off, s[60:63], 0 ; 4-byte Folded Reload
	buffer_load_dword v19, off, s[60:63], 0 offset:4 ; 4-byte Folded Reload
	s_and_b64 s[0:1], exec, vcc
	s_mov_b64 exec, s[0:1]
	s_cbranch_execz .LBB0_23
; %bb.22:
	global_load_dwordx4 v[0:3], v213, s[12:13]
	ds_read_b128 v[4:7], v162
	ds_read_b128 v[8:11], v162 offset:416
	s_waitcnt vmcnt(2)
	v_mad_u64_u32 v[12:13], s[0:1], s6, v18, 0
	v_mad_u64_u32 v[14:15], s[0:1], s4, v184, 0
	s_mul_i32 s3, s5, 0x1a0
	s_mul_hi_u32 s6, s4, 0x1a0
	s_waitcnt vmcnt(1)
	v_mad_u64_u32 v[18:19], s[0:1], s7, v18, v[13:14]
	s_mul_i32 s2, s4, 0x1a0
	s_add_i32 s3, s6, s3
	v_mov_b32_e32 v13, v18
	s_movk_i32 s6, 0x1000
	s_waitcnt vmcnt(0) lgkmcnt(1)
	v_mul_f64 v[16:17], v[6:7], v[2:3]
	v_mul_f64 v[2:3], v[4:5], v[2:3]
	v_fma_f64 v[4:5], v[4:5], v[0:1], v[16:17]
	v_fma_f64 v[0:1], v[0:1], v[6:7], -v[2:3]
	v_mad_u64_u32 v[19:20], s[0:1], s5, v184, v[15:16]
	s_mov_b32 s0, 0x1288b013
	s_mov_b32 s1, 0x3f6288b0
	v_lshlrev_b64 v[6:7], 4, v[12:13]
	v_mov_b32_e32 v15, v19
	v_mul_f64 v[2:3], v[4:5], s[0:1]
	v_mul_f64 v[4:5], v[0:1], s[0:1]
	v_mov_b32_e32 v16, s15
	v_lshlrev_b64 v[12:13], 4, v[14:15]
	v_add_co_u32_e32 v0, vcc, s14, v6
	v_addc_co_u32_e32 v1, vcc, v16, v7, vcc
	v_add_co_u32_e32 v6, vcc, v0, v12
	v_addc_co_u32_e32 v7, vcc, v1, v13, vcc
	global_store_dwordx4 v[6:7], v[2:5], off
	global_load_dwordx4 v[2:5], v213, s[12:13] offset:416
	v_add_co_u32_e32 v14, vcc, s2, v6
	s_waitcnt vmcnt(0) lgkmcnt(0)
	v_mul_f64 v[12:13], v[10:11], v[4:5]
	v_mul_f64 v[4:5], v[8:9], v[4:5]
	v_fma_f64 v[8:9], v[8:9], v[2:3], v[12:13]
	v_fma_f64 v[4:5], v[2:3], v[10:11], -v[4:5]
	v_mul_f64 v[2:3], v[8:9], s[0:1]
	v_mul_f64 v[4:5], v[4:5], s[0:1]
	v_mov_b32_e32 v8, s3
	v_addc_co_u32_e32 v15, vcc, v7, v8, vcc
	global_store_dwordx4 v[14:15], v[2:5], off
	global_load_dwordx4 v[2:5], v213, s[12:13] offset:832
	ds_read_b128 v[6:9], v162 offset:832
	ds_read_b128 v[10:13], v162 offset:1248
	s_waitcnt vmcnt(0) lgkmcnt(1)
	v_mul_f64 v[16:17], v[8:9], v[4:5]
	v_mul_f64 v[4:5], v[6:7], v[4:5]
	v_fma_f64 v[6:7], v[6:7], v[2:3], v[16:17]
	v_fma_f64 v[4:5], v[2:3], v[8:9], -v[4:5]
	v_mul_f64 v[2:3], v[6:7], s[0:1]
	v_mul_f64 v[4:5], v[4:5], s[0:1]
	v_mov_b32_e32 v7, s3
	v_add_co_u32_e32 v6, vcc, s2, v14
	v_addc_co_u32_e32 v7, vcc, v15, v7, vcc
	v_add_co_u32_e32 v14, vcc, s2, v6
	global_store_dwordx4 v[6:7], v[2:5], off
	global_load_dwordx4 v[2:5], v213, s[12:13] offset:1248
	s_waitcnt vmcnt(0) lgkmcnt(0)
	v_mul_f64 v[8:9], v[12:13], v[4:5]
	v_mul_f64 v[4:5], v[10:11], v[4:5]
	v_fma_f64 v[8:9], v[10:11], v[2:3], v[8:9]
	v_fma_f64 v[4:5], v[2:3], v[12:13], -v[4:5]
	v_mul_f64 v[2:3], v[8:9], s[0:1]
	v_mul_f64 v[4:5], v[4:5], s[0:1]
	v_mov_b32_e32 v8, s3
	v_addc_co_u32_e32 v15, vcc, v7, v8, vcc
	global_store_dwordx4 v[14:15], v[2:5], off
	global_load_dwordx4 v[2:5], v213, s[12:13] offset:1664
	ds_read_b128 v[6:9], v162 offset:1664
	ds_read_b128 v[10:13], v162 offset:2080
	s_waitcnt vmcnt(0) lgkmcnt(1)
	v_mul_f64 v[16:17], v[8:9], v[4:5]
	v_mul_f64 v[4:5], v[6:7], v[4:5]
	v_fma_f64 v[6:7], v[6:7], v[2:3], v[16:17]
	v_fma_f64 v[4:5], v[2:3], v[8:9], -v[4:5]
	v_mul_f64 v[2:3], v[6:7], s[0:1]
	v_mul_f64 v[4:5], v[4:5], s[0:1]
	v_mov_b32_e32 v7, s3
	v_add_co_u32_e32 v6, vcc, s2, v14
	v_addc_co_u32_e32 v7, vcc, v15, v7, vcc
	v_add_co_u32_e32 v14, vcc, s2, v6
	global_store_dwordx4 v[6:7], v[2:5], off
	global_load_dwordx4 v[2:5], v213, s[12:13] offset:2080
	;; [unrolled: 26-line block ×3, first 2 shown]
	s_waitcnt vmcnt(0) lgkmcnt(0)
	v_mul_f64 v[8:9], v[12:13], v[4:5]
	v_mul_f64 v[4:5], v[10:11], v[4:5]
	v_fma_f64 v[8:9], v[10:11], v[2:3], v[8:9]
	v_fma_f64 v[4:5], v[2:3], v[12:13], -v[4:5]
	v_mul_f64 v[2:3], v[8:9], s[0:1]
	v_mul_f64 v[4:5], v[4:5], s[0:1]
	v_mov_b32_e32 v8, s3
	v_addc_co_u32_e32 v15, vcc, v7, v8, vcc
	global_store_dwordx4 v[14:15], v[2:5], off
	global_load_dwordx4 v[2:5], v213, s[12:13] offset:3328
	ds_read_b128 v[6:9], v162 offset:3328
	ds_read_b128 v[10:13], v162 offset:3744
	s_waitcnt vmcnt(0) lgkmcnt(1)
	v_mul_f64 v[16:17], v[8:9], v[4:5]
	v_mul_f64 v[4:5], v[6:7], v[4:5]
	v_fma_f64 v[6:7], v[6:7], v[2:3], v[16:17]
	v_fma_f64 v[4:5], v[2:3], v[8:9], -v[4:5]
	v_mul_f64 v[2:3], v[6:7], s[0:1]
	v_mul_f64 v[4:5], v[4:5], s[0:1]
	v_mov_b32_e32 v7, s3
	v_add_co_u32_e32 v6, vcc, s2, v14
	v_addc_co_u32_e32 v7, vcc, v15, v7, vcc
	v_mov_b32_e32 v14, s13
	global_store_dwordx4 v[6:7], v[2:5], off
	global_load_dwordx4 v[2:5], v213, s[12:13] offset:3744
	s_waitcnt vmcnt(0) lgkmcnt(0)
	v_mul_f64 v[8:9], v[12:13], v[4:5]
	v_mul_f64 v[4:5], v[10:11], v[4:5]
	v_fma_f64 v[8:9], v[10:11], v[2:3], v[8:9]
	v_fma_f64 v[4:5], v[2:3], v[12:13], -v[4:5]
	v_add_co_u32_e32 v10, vcc, s12, v213
	v_addc_co_u32_e32 v11, vcc, 0, v14, vcc
	v_add_co_u32_e32 v14, vcc, s6, v10
	v_mul_f64 v[2:3], v[8:9], s[0:1]
	v_mul_f64 v[4:5], v[4:5], s[0:1]
	v_addc_co_u32_e32 v15, vcc, 0, v11, vcc
	v_mov_b32_e32 v12, s3
	v_add_co_u32_e32 v16, vcc, s2, v6
	v_addc_co_u32_e32 v17, vcc, v7, v12, vcc
	global_store_dwordx4 v[16:17], v[2:5], off
	global_load_dwordx4 v[2:5], v[14:15], off offset:64
	ds_read_b128 v[6:9], v162 offset:4160
	ds_read_b128 v[10:13], v162 offset:4576
	s_waitcnt vmcnt(0) lgkmcnt(1)
	v_mul_f64 v[18:19], v[8:9], v[4:5]
	v_mul_f64 v[4:5], v[6:7], v[4:5]
	v_fma_f64 v[6:7], v[6:7], v[2:3], v[18:19]
	v_fma_f64 v[4:5], v[2:3], v[8:9], -v[4:5]
	v_mul_f64 v[2:3], v[6:7], s[0:1]
	v_mul_f64 v[4:5], v[4:5], s[0:1]
	v_mov_b32_e32 v7, s3
	v_add_co_u32_e32 v6, vcc, s2, v16
	v_addc_co_u32_e32 v7, vcc, v17, v7, vcc
	v_add_co_u32_e32 v16, vcc, s2, v6
	global_store_dwordx4 v[6:7], v[2:5], off
	global_load_dwordx4 v[2:5], v[14:15], off offset:480
	s_waitcnt vmcnt(0) lgkmcnt(0)
	v_mul_f64 v[8:9], v[12:13], v[4:5]
	v_mul_f64 v[4:5], v[10:11], v[4:5]
	v_fma_f64 v[8:9], v[10:11], v[2:3], v[8:9]
	v_fma_f64 v[4:5], v[2:3], v[12:13], -v[4:5]
	v_mul_f64 v[2:3], v[8:9], s[0:1]
	v_mul_f64 v[4:5], v[4:5], s[0:1]
	v_mov_b32_e32 v8, s3
	v_addc_co_u32_e32 v17, vcc, v7, v8, vcc
	global_store_dwordx4 v[16:17], v[2:5], off
	global_load_dwordx4 v[2:5], v[14:15], off offset:896
	ds_read_b128 v[6:9], v162 offset:4992
	ds_read_b128 v[10:13], v162 offset:5408
	s_waitcnt vmcnt(0) lgkmcnt(1)
	v_mul_f64 v[18:19], v[8:9], v[4:5]
	v_mul_f64 v[4:5], v[6:7], v[4:5]
	v_fma_f64 v[6:7], v[6:7], v[2:3], v[18:19]
	v_fma_f64 v[4:5], v[2:3], v[8:9], -v[4:5]
	v_mul_f64 v[2:3], v[6:7], s[0:1]
	v_mul_f64 v[4:5], v[4:5], s[0:1]
	v_mov_b32_e32 v7, s3
	v_add_co_u32_e32 v6, vcc, s2, v16
	v_addc_co_u32_e32 v7, vcc, v17, v7, vcc
	v_add_co_u32_e32 v16, vcc, s2, v6
	global_store_dwordx4 v[6:7], v[2:5], off
	global_load_dwordx4 v[2:5], v[14:15], off offset:1312
	s_waitcnt vmcnt(0) lgkmcnt(0)
	v_mul_f64 v[8:9], v[12:13], v[4:5]
	v_mul_f64 v[4:5], v[10:11], v[4:5]
	v_fma_f64 v[8:9], v[10:11], v[2:3], v[8:9]
	v_fma_f64 v[4:5], v[2:3], v[12:13], -v[4:5]
	v_mul_f64 v[2:3], v[8:9], s[0:1]
	v_mul_f64 v[4:5], v[4:5], s[0:1]
	v_mov_b32_e32 v8, s3
	v_addc_co_u32_e32 v17, vcc, v7, v8, vcc
	global_store_dwordx4 v[16:17], v[2:5], off
	global_load_dwordx4 v[2:5], v[14:15], off offset:1728
	ds_read_b128 v[6:9], v162 offset:5824
	ds_read_b128 v[10:13], v162 offset:6240
	s_waitcnt vmcnt(0) lgkmcnt(1)
	v_mul_f64 v[18:19], v[8:9], v[4:5]
	v_mul_f64 v[4:5], v[6:7], v[4:5]
	v_fma_f64 v[6:7], v[6:7], v[2:3], v[18:19]
	v_fma_f64 v[4:5], v[2:3], v[8:9], -v[4:5]
	v_mul_f64 v[2:3], v[6:7], s[0:1]
	v_mul_f64 v[4:5], v[4:5], s[0:1]
	v_mov_b32_e32 v7, s3
	v_add_co_u32_e32 v6, vcc, s2, v16
	v_addc_co_u32_e32 v7, vcc, v17, v7, vcc
	global_store_dwordx4 v[6:7], v[2:5], off
	global_load_dwordx4 v[2:5], v[14:15], off offset:2144
	v_add_co_u32_e32 v6, vcc, s2, v6
	s_waitcnt vmcnt(0) lgkmcnt(0)
	v_mul_f64 v[8:9], v[12:13], v[4:5]
	v_mul_f64 v[4:5], v[10:11], v[4:5]
	v_fma_f64 v[8:9], v[10:11], v[2:3], v[8:9]
	v_fma_f64 v[4:5], v[2:3], v[12:13], -v[4:5]
	v_or_b32_e32 v12, 0x1a0, v184
	v_mul_f64 v[2:3], v[8:9], s[0:1]
	v_mul_f64 v[4:5], v[4:5], s[0:1]
	v_mov_b32_e32 v9, s3
	v_addc_co_u32_e32 v7, vcc, v7, v9, vcc
	v_lshlrev_b32_e32 v8, 4, v12
	global_store_dwordx4 v[6:7], v[2:5], off
	global_load_dwordx4 v[2:5], v8, s[12:13]
	ds_read_b128 v[6:9], v162 offset:6656
	s_waitcnt vmcnt(0) lgkmcnt(0)
	v_mul_f64 v[10:11], v[8:9], v[4:5]
	v_mul_f64 v[4:5], v[6:7], v[4:5]
	v_fma_f64 v[6:7], v[6:7], v[2:3], v[10:11]
	v_fma_f64 v[4:5], v[2:3], v[8:9], -v[4:5]
	v_mad_u64_u32 v[8:9], s[2:3], s4, v12, 0
	v_mov_b32_e32 v2, v9
	v_mad_u64_u32 v[9:10], s[2:3], s5, v12, v[2:3]
	v_mul_f64 v[2:3], v[6:7], s[0:1]
	v_mul_f64 v[4:5], v[4:5], s[0:1]
	v_lshlrev_b64 v[6:7], 4, v[8:9]
	v_add_co_u32_e32 v0, vcc, v0, v6
	v_addc_co_u32_e32 v1, vcc, v1, v7, vcc
	global_store_dwordx4 v[0:1], v[2:5], off
.LBB0_23:
	s_endpgm
	.section	.rodata,"a",@progbits
	.p2align	6, 0x0
	.amdhsa_kernel bluestein_single_back_len442_dim1_dp_op_CI_CI
		.amdhsa_group_segment_fixed_size 49504
		.amdhsa_private_segment_fixed_size 532
		.amdhsa_kernarg_size 104
		.amdhsa_user_sgpr_count 6
		.amdhsa_user_sgpr_private_segment_buffer 1
		.amdhsa_user_sgpr_dispatch_ptr 0
		.amdhsa_user_sgpr_queue_ptr 0
		.amdhsa_user_sgpr_kernarg_segment_ptr 1
		.amdhsa_user_sgpr_dispatch_id 0
		.amdhsa_user_sgpr_flat_scratch_init 0
		.amdhsa_user_sgpr_private_segment_size 0
		.amdhsa_uses_dynamic_stack 0
		.amdhsa_system_sgpr_private_segment_wavefront_offset 1
		.amdhsa_system_sgpr_workgroup_id_x 1
		.amdhsa_system_sgpr_workgroup_id_y 0
		.amdhsa_system_sgpr_workgroup_id_z 0
		.amdhsa_system_sgpr_workgroup_info 0
		.amdhsa_system_vgpr_workitem_id 0
		.amdhsa_next_free_vgpr 256
		.amdhsa_next_free_sgpr 64
		.amdhsa_reserve_vcc 1
		.amdhsa_reserve_flat_scratch 0
		.amdhsa_float_round_mode_32 0
		.amdhsa_float_round_mode_16_64 0
		.amdhsa_float_denorm_mode_32 3
		.amdhsa_float_denorm_mode_16_64 3
		.amdhsa_dx10_clamp 1
		.amdhsa_ieee_mode 1
		.amdhsa_fp16_overflow 0
		.amdhsa_exception_fp_ieee_invalid_op 0
		.amdhsa_exception_fp_denorm_src 0
		.amdhsa_exception_fp_ieee_div_zero 0
		.amdhsa_exception_fp_ieee_overflow 0
		.amdhsa_exception_fp_ieee_underflow 0
		.amdhsa_exception_fp_ieee_inexact 0
		.amdhsa_exception_int_div_zero 0
	.end_amdhsa_kernel
	.text
.Lfunc_end0:
	.size	bluestein_single_back_len442_dim1_dp_op_CI_CI, .Lfunc_end0-bluestein_single_back_len442_dim1_dp_op_CI_CI
                                        ; -- End function
	.section	.AMDGPU.csdata,"",@progbits
; Kernel info:
; codeLenInByte = 33144
; NumSgprs: 68
; NumVgprs: 256
; ScratchSize: 532
; MemoryBound: 0
; FloatMode: 240
; IeeeMode: 1
; LDSByteSize: 49504 bytes/workgroup (compile time only)
; SGPRBlocks: 8
; VGPRBlocks: 63
; NumSGPRsForWavesPerEU: 68
; NumVGPRsForWavesPerEU: 256
; Occupancy: 1
; WaveLimiterHint : 1
; COMPUTE_PGM_RSRC2:SCRATCH_EN: 1
; COMPUTE_PGM_RSRC2:USER_SGPR: 6
; COMPUTE_PGM_RSRC2:TRAP_HANDLER: 0
; COMPUTE_PGM_RSRC2:TGID_X_EN: 1
; COMPUTE_PGM_RSRC2:TGID_Y_EN: 0
; COMPUTE_PGM_RSRC2:TGID_Z_EN: 0
; COMPUTE_PGM_RSRC2:TIDIG_COMP_CNT: 0
	.type	__hip_cuid_e89feac71547d802,@object ; @__hip_cuid_e89feac71547d802
	.section	.bss,"aw",@nobits
	.globl	__hip_cuid_e89feac71547d802
__hip_cuid_e89feac71547d802:
	.byte	0                               ; 0x0
	.size	__hip_cuid_e89feac71547d802, 1

	.ident	"AMD clang version 19.0.0git (https://github.com/RadeonOpenCompute/llvm-project roc-6.4.0 25133 c7fe45cf4b819c5991fe208aaa96edf142730f1d)"
	.section	".note.GNU-stack","",@progbits
	.addrsig
	.addrsig_sym __hip_cuid_e89feac71547d802
	.amdgpu_metadata
---
amdhsa.kernels:
  - .args:
      - .actual_access:  read_only
        .address_space:  global
        .offset:         0
        .size:           8
        .value_kind:     global_buffer
      - .actual_access:  read_only
        .address_space:  global
        .offset:         8
        .size:           8
        .value_kind:     global_buffer
      - .actual_access:  read_only
        .address_space:  global
        .offset:         16
        .size:           8
        .value_kind:     global_buffer
      - .actual_access:  read_only
        .address_space:  global
        .offset:         24
        .size:           8
        .value_kind:     global_buffer
      - .actual_access:  read_only
        .address_space:  global
        .offset:         32
        .size:           8
        .value_kind:     global_buffer
      - .offset:         40
        .size:           8
        .value_kind:     by_value
      - .address_space:  global
        .offset:         48
        .size:           8
        .value_kind:     global_buffer
      - .address_space:  global
        .offset:         56
        .size:           8
        .value_kind:     global_buffer
      - .address_space:  global
        .offset:         64
        .size:           8
        .value_kind:     global_buffer
      - .address_space:  global
        .offset:         72
        .size:           8
        .value_kind:     global_buffer
      - .offset:         80
        .size:           4
        .value_kind:     by_value
      - .address_space:  global
        .offset:         88
        .size:           8
        .value_kind:     global_buffer
      - .address_space:  global
        .offset:         96
        .size:           8
        .value_kind:     global_buffer
    .group_segment_fixed_size: 49504
    .kernarg_segment_align: 8
    .kernarg_segment_size: 104
    .language:       OpenCL C
    .language_version:
      - 2
      - 0
    .max_flat_workgroup_size: 238
    .name:           bluestein_single_back_len442_dim1_dp_op_CI_CI
    .private_segment_fixed_size: 532
    .sgpr_count:     68
    .sgpr_spill_count: 0
    .symbol:         bluestein_single_back_len442_dim1_dp_op_CI_CI.kd
    .uniform_work_group_size: 1
    .uses_dynamic_stack: false
    .vgpr_count:     256
    .vgpr_spill_count: 225
    .wavefront_size: 64
amdhsa.target:   amdgcn-amd-amdhsa--gfx906
amdhsa.version:
  - 1
  - 2
...

	.end_amdgpu_metadata
